;; amdgpu-corpus repo=ROCm/rocFFT kind=compiled arch=gfx1030 opt=O3
	.text
	.amdgcn_target "amdgcn-amd-amdhsa--gfx1030"
	.amdhsa_code_object_version 6
	.protected	bluestein_single_fwd_len540_dim1_dp_op_CI_CI ; -- Begin function bluestein_single_fwd_len540_dim1_dp_op_CI_CI
	.globl	bluestein_single_fwd_len540_dim1_dp_op_CI_CI
	.p2align	8
	.type	bluestein_single_fwd_len540_dim1_dp_op_CI_CI,@function
bluestein_single_fwd_len540_dim1_dp_op_CI_CI: ; @bluestein_single_fwd_len540_dim1_dp_op_CI_CI
; %bb.0:
	s_load_dwordx4 s[8:11], s[4:5], 0x28
	v_mul_u32_u24_e32 v1, 0x4be, v0
	v_mov_b32_e32 v193, 0
	s_mov_b32 s0, exec_lo
	v_lshrrev_b32_e32 v38, 16, v1
	v_lshl_add_u32 v192, s6, 2, v38
	s_waitcnt lgkmcnt(0)
	v_cmpx_gt_u64_e64 s[8:9], v[192:193]
	s_cbranch_execz .LBB0_31
; %bb.1:
	s_clause 0x1
	s_load_dwordx4 s[0:3], s[4:5], 0x18
	s_load_dwordx2 s[6:7], s[4:5], 0x0
	v_mul_lo_u16 v1, v38, 54
	v_and_b32_e32 v38, 3, v38
	v_sub_nc_u16 v111, v0, v1
	v_mul_u32_u24_e32 v198, 0x21c, v38
	v_and_b32_e32 v199, 0xffff, v111
	v_lshlrev_b32_e32 v201, 4, v198
	v_lshlrev_b32_e32 v197, 4, v199
	s_waitcnt lgkmcnt(0)
	s_load_dwordx4 s[12:15], s[0:1], 0x0
	s_clause 0x1
	global_load_dwordx4 v[0:3], v197, s[6:7]
	global_load_dwordx4 v[4:7], v197, s[6:7] offset:864
	v_add_co_u32 v204, s0, s6, v197
	v_add_co_ci_u32_e64 v205, null, s7, 0, s0
	global_load_dwordx4 v[8:11], v197, s[6:7] offset:1728
	v_add_co_u32 v195, vcc_lo, 0x800, v204
	v_add_co_ci_u32_e32 v196, vcc_lo, 0, v205, vcc_lo
	v_add_co_u32 v193, vcc_lo, 0x1000, v204
	v_add_co_ci_u32_e32 v194, vcc_lo, 0, v205, vcc_lo
	v_add_co_u32 v32, vcc_lo, 0x1800, v204
	v_add_co_ci_u32_e32 v33, vcc_lo, 0, v205, vcc_lo
	global_load_dwordx4 v[16:19], v[193:194], off offset:1664
	s_waitcnt lgkmcnt(0)
	v_mad_u64_u32 v[24:25], null, s14, v192, 0
	v_mad_u64_u32 v[26:27], null, s12, v199, 0
	s_mul_i32 s1, s13, 0xb4
	s_mul_hi_u32 s7, s12, 0xb4
	s_mul_i32 s0, s12, 0xb4
	s_mul_hi_u32 s9, s12, 0xfffffece
	v_mov_b32_e32 v12, v25
	s_add_i32 s1, s7, s1
	v_mov_b32_e32 v13, v27
	s_mul_i32 s8, s13, 0xfffffece
	s_mul_i32 s6, s12, 0xfffffece
	s_sub_i32 s7, s9, s12
	v_add_nc_u32_e32 v200, v201, v197
	v_mad_u64_u32 v[27:28], null, s15, v192, v[12:13]
	v_mad_u64_u32 v[28:29], null, s13, v199, v[13:14]
	s_lshl_b64 s[12:13], s[0:1], 4
	s_add_i32 s7, s7, s8
	s_clause 0x1
	global_load_dwordx4 v[20:23], v[195:196], off offset:832
	global_load_dwordx4 v[12:15], v[195:196], off offset:1696
	s_lshl_b64 s[0:1], s[6:7], 4
	v_mov_b32_e32 v25, v27
	v_mov_b32_e32 v27, v28
	v_lshlrev_b64 v[24:25], 4, v[24:25]
	v_lshlrev_b64 v[26:27], 4, v[26:27]
	v_add_co_u32 v24, vcc_lo, s10, v24
	v_add_co_ci_u32_e32 v25, vcc_lo, s11, v25, vcc_lo
	v_add_co_u32 v28, vcc_lo, v24, v26
	v_add_co_ci_u32_e32 v29, vcc_lo, v25, v27, vcc_lo
	global_load_dwordx4 v[24:27], v[32:33], off offset:480
	v_add_co_u32 v30, vcc_lo, v28, s12
	v_add_co_ci_u32_e32 v31, vcc_lo, s13, v29, vcc_lo
	s_clause 0x1
	global_load_dwordx4 v[39:42], v[28:29], off
	global_load_dwordx4 v[43:46], v[30:31], off
	v_add_co_u32 v34, vcc_lo, v30, s12
	v_add_co_ci_u32_e32 v35, vcc_lo, s13, v31, vcc_lo
	v_add_co_u32 v36, vcc_lo, v34, s0
	v_add_co_ci_u32_e32 v37, vcc_lo, s1, v35, vcc_lo
	s_clause 0x1
	global_load_dwordx4 v[47:50], v[34:35], off
	global_load_dwordx4 v[51:54], v[36:37], off
	v_add_co_u32 v55, vcc_lo, v36, s12
	v_add_co_ci_u32_e32 v56, vcc_lo, s13, v37, vcc_lo
	v_add_co_u32 v28, vcc_lo, v55, s12
	v_add_co_ci_u32_e32 v29, vcc_lo, s13, v56, vcc_lo
	global_load_dwordx4 v[55:58], v[55:56], off
	v_add_co_u32 v30, vcc_lo, v28, s0
	v_add_co_ci_u32_e32 v31, vcc_lo, s1, v29, vcc_lo
	global_load_dwordx4 v[59:62], v[28:29], off
	v_add_co_u32 v34, vcc_lo, v30, s12
	v_add_co_ci_u32_e32 v35, vcc_lo, s13, v31, vcc_lo
	v_add_co_u32 v36, vcc_lo, v34, s12
	v_add_co_ci_u32_e32 v37, vcc_lo, s13, v35, vcc_lo
	global_load_dwordx4 v[63:66], v[30:31], off
	global_load_dwordx4 v[28:31], v[193:194], off offset:512
	global_load_dwordx4 v[67:70], v[34:35], off
	global_load_dwordx4 v[32:35], v[32:33], off offset:1344
	global_load_dwordx4 v[71:74], v[36:37], off
	s_load_dwordx2 s[6:7], s[4:5], 0x38
	s_load_dwordx4 s[8:11], s[2:3], 0x0
	v_cmp_gt_u16_e32 vcc_lo, 18, v111
	s_waitcnt vmcnt(10)
	v_mul_f64 v[75:76], v[41:42], v[2:3]
	v_mul_f64 v[77:78], v[39:40], v[2:3]
	s_waitcnt vmcnt(9)
	v_mul_f64 v[79:80], v[45:46], v[22:23]
	v_mul_f64 v[81:82], v[43:44], v[22:23]
	;; [unrolled: 3-line block ×4, first 2 shown]
	v_fma_f64 v[38:39], v[39:40], v[0:1], v[75:76]
	s_waitcnt vmcnt(6)
	v_mul_f64 v[91:92], v[57:58], v[14:15]
	v_mul_f64 v[93:94], v[55:56], v[14:15]
	v_fma_f64 v[40:41], v[41:42], v[0:1], -v[77:78]
	v_fma_f64 v[42:43], v[43:44], v[20:21], v[79:80]
	v_fma_f64 v[44:45], v[45:46], v[20:21], -v[81:82]
	s_waitcnt vmcnt(5)
	v_mul_f64 v[95:96], v[61:62], v[26:27]
	v_mul_f64 v[97:98], v[59:60], v[26:27]
	s_waitcnt vmcnt(4)
	v_mul_f64 v[99:100], v[65:66], v[10:11]
	v_mul_f64 v[101:102], v[63:64], v[10:11]
	;; [unrolled: 3-line block ×4, first 2 shown]
	v_fma_f64 v[46:47], v[47:48], v[16:17], v[83:84]
	v_fma_f64 v[48:49], v[49:50], v[16:17], -v[85:86]
	v_fma_f64 v[50:51], v[51:52], v[4:5], v[87:88]
	v_fma_f64 v[52:53], v[53:54], v[4:5], -v[89:90]
	;; [unrolled: 2-line block ×3, first 2 shown]
	ds_write_b128 v200, v[38:41]
	ds_write_b128 v200, v[42:45] offset:2880
	ds_write_b128 v200, v[46:49] offset:5760
	;; [unrolled: 1-line block ×4, first 2 shown]
	v_fma_f64 v[58:59], v[59:60], v[24:25], v[95:96]
	v_fma_f64 v[60:61], v[61:62], v[24:25], -v[97:98]
	v_fma_f64 v[62:63], v[63:64], v[8:9], v[99:100]
	v_fma_f64 v[64:65], v[65:66], v[8:9], -v[101:102]
	;; [unrolled: 2-line block ×4, first 2 shown]
	ds_write_b128 v200, v[58:61] offset:6624
	ds_write_b128 v200, v[62:65] offset:1728
	;; [unrolled: 1-line block ×4, first 2 shown]
	s_and_saveexec_b32 s2, vcc_lo
	s_cbranch_execz .LBB0_3
; %bb.2:
	v_add_co_u32 v40, s0, v36, s0
	v_add_co_ci_u32_e64 v41, s0, s1, v37, s0
	v_add_co_u32 v44, s0, v40, s12
	v_add_co_ci_u32_e64 v45, s0, s13, v41, s0
	;; [unrolled: 2-line block ×3, first 2 shown]
	v_add_co_u32 v56, s0, v44, s12
	global_load_dwordx4 v[36:39], v[40:41], off
	v_add_co_ci_u32_e64 v57, s0, s13, v45, s0
	global_load_dwordx4 v[40:43], v[195:196], off offset:544
	global_load_dwordx4 v[44:47], v[44:45], off
	s_clause 0x1
	global_load_dwordx4 v[48:51], v[193:194], off offset:1376
	global_load_dwordx4 v[52:55], v[52:53], off offset:160
	global_load_dwordx4 v[56:59], v[56:57], off
	s_waitcnt vmcnt(4)
	v_mul_f64 v[60:61], v[38:39], v[42:43]
	v_mul_f64 v[42:43], v[36:37], v[42:43]
	s_waitcnt vmcnt(2)
	v_mul_f64 v[62:63], v[46:47], v[50:51]
	v_mul_f64 v[50:51], v[44:45], v[50:51]
	;; [unrolled: 3-line block ×3, first 2 shown]
	v_fma_f64 v[36:37], v[36:37], v[40:41], v[60:61]
	v_fma_f64 v[38:39], v[38:39], v[40:41], -v[42:43]
	v_fma_f64 v[40:41], v[44:45], v[48:49], v[62:63]
	v_fma_f64 v[42:43], v[46:47], v[48:49], -v[50:51]
	;; [unrolled: 2-line block ×3, first 2 shown]
	ds_write_b128 v200, v[36:39] offset:2592
	ds_write_b128 v200, v[40:43] offset:5472
	;; [unrolled: 1-line block ×3, first 2 shown]
.LBB0_3:
	s_or_b32 exec_lo, exec_lo, s2
	s_waitcnt lgkmcnt(0)
	s_barrier
	buffer_gl0_inv
	ds_read_b128 v[72:75], v200
	ds_read_b128 v[64:67], v200 offset:864
	ds_read_b128 v[56:59], v200 offset:5760
	;; [unrolled: 1-line block ×8, first 2 shown]
                                        ; implicit-def: $vgpr36_vgpr37
                                        ; implicit-def: $vgpr40_vgpr41
                                        ; implicit-def: $vgpr44_vgpr45
	s_and_saveexec_b32 s0, vcc_lo
	s_cbranch_execz .LBB0_5
; %bb.4:
	ds_read_b128 v[36:39], v200 offset:2592
	ds_read_b128 v[40:43], v200 offset:5472
	;; [unrolled: 1-line block ×3, first 2 shown]
.LBB0_5:
	s_or_b32 exec_lo, exec_lo, s0
	s_waitcnt lgkmcnt(4)
	v_add_f64 v[84:85], v[80:81], v[56:57]
	v_add_f64 v[86:87], v[82:83], v[58:59]
	s_waitcnt lgkmcnt(2)
	v_add_f64 v[88:89], v[76:77], v[52:53]
	v_add_f64 v[90:91], v[78:79], v[54:55]
	;; [unrolled: 3-line block ×3, first 2 shown]
	v_add_f64 v[92:93], v[68:69], v[48:49]
	v_add_f64 v[96:97], v[70:71], v[50:51]
	;; [unrolled: 1-line block ×3, first 2 shown]
	v_add_f64 v[98:99], v[82:83], -v[58:59]
	v_add_f64 v[82:83], v[74:75], v[82:83]
	v_add_f64 v[80:81], v[80:81], -v[56:57]
	v_add_f64 v[114:115], v[42:43], -v[46:47]
	;; [unrolled: 1-line block ×3, first 2 shown]
	v_add_f64 v[104:105], v[60:61], v[68:69]
	v_add_f64 v[108:109], v[62:63], v[70:71]
	v_add_f64 v[106:107], v[70:71], -v[50:51]
	v_add_f64 v[110:111], v[68:69], -v[48:49]
	s_mov_b32 s0, 0xe8584caa
	s_load_dwordx2 s[2:3], s[4:5], 0x8
	s_mov_b32 s1, 0x3febb67a
	s_mov_b32 s5, 0xbfebb67a
	v_fma_f64 v[72:73], v[84:85], -0.5, v[72:73]
	v_fma_f64 v[74:75], v[86:87], -0.5, v[74:75]
	v_add_f64 v[84:85], v[64:65], v[76:77]
	v_add_f64 v[86:87], v[78:79], -v[54:55]
	v_fma_f64 v[88:89], v[88:89], -0.5, v[64:65]
	v_add_f64 v[78:79], v[66:67], v[78:79]
	v_add_f64 v[76:77], v[76:77], -v[52:53]
	v_fma_f64 v[90:91], v[90:91], -0.5, v[66:67]
	v_fma_f64 v[100:101], v[100:101], -0.5, v[36:37]
	;; [unrolled: 1-line block ×5, first 2 shown]
	s_mov_b32 s4, s0
	v_add_f64 v[56:57], v[94:95], v[56:57]
	v_add_f64 v[58:59], v[82:83], v[58:59]
	v_add_f64 v[48:49], v[104:105], v[48:49]
	v_add_f64 v[50:51], v[108:109], v[50:51]
	v_add_co_u32 v213, null, v199, 54
	v_add_co_u32 v212, null, 0x6c, v199
	s_waitcnt lgkmcnt(0)
	v_fma_f64 v[60:61], v[98:99], s[0:1], v[72:73]
	v_fma_f64 v[64:65], v[98:99], s[4:5], v[72:73]
	;; [unrolled: 1-line block ×4, first 2 shown]
	v_add_f64 v[52:53], v[84:85], v[52:53]
	v_fma_f64 v[72:73], v[86:87], s[4:5], v[88:89]
	v_add_f64 v[54:55], v[78:79], v[54:55]
	v_fma_f64 v[74:75], v[76:77], s[0:1], v[90:91]
	v_fma_f64 v[112:113], v[114:115], s[0:1], v[100:101]
	;; [unrolled: 1-line block ×9, first 2 shown]
	v_mul_lo_u16 v84, v199, 3
	v_fma_f64 v[80:81], v[106:107], s[4:5], v[92:93]
	v_fma_f64 v[82:83], v[110:111], s[0:1], v[96:97]
	v_add_co_u32 v214, s0, 0xa2, v199
	v_and_b32_e32 v84, 0xffff, v84
	v_mul_u32_u24_e32 v85, 3, v213
	v_add_co_ci_u32_e64 v215, null, 0, 0, s0
	v_mul_u32_u24_e32 v207, 3, v214
	v_lshl_add_u32 v208, v84, 4, v201
	v_mul_u32_u24_e32 v84, 3, v212
	v_lshl_add_u32 v209, v85, 4, v201
	s_barrier
	buffer_gl0_inv
	ds_write_b128 v208, v[56:59]
	ds_write_b128 v208, v[60:63] offset:16
	ds_write_b128 v208, v[64:67] offset:32
	v_lshl_add_u32 v206, v84, 4, v201
	ds_write_b128 v209, v[52:55]
	ds_write_b128 v209, v[68:71] offset:16
	ds_write_b128 v209, v[72:75] offset:32
	ds_write_b128 v206, v[48:51]
	ds_write_b128 v206, v[76:79] offset:16
	ds_write_b128 v206, v[80:83] offset:32
	s_and_saveexec_b32 s0, vcc_lo
	s_cbranch_execz .LBB0_7
; %bb.6:
	v_add_f64 v[38:39], v[38:39], v[42:43]
	v_add_f64 v[36:37], v[36:37], v[40:41]
	v_lshl_add_u32 v40, v207, 4, v201
	v_add_f64 v[38:39], v[38:39], v[46:47]
	v_add_f64 v[36:37], v[36:37], v[44:45]
	ds_write_b128 v40, v[112:115] offset:16
	ds_write_b128 v40, v[36:39]
	ds_write_b128 v40, v[116:119] offset:32
.LBB0_7:
	s_or_b32 exec_lo, exec_lo, s0
	v_and_b32_e32 v36, 0xff, v199
	s_waitcnt lgkmcnt(0)
	s_barrier
	buffer_gl0_inv
	s_mov_b32 s0, 0x134454ff
	v_mul_lo_u16 v36, 0xab, v36
	s_mov_b32 s1, 0x3fee6f0e
	s_mov_b32 s15, 0xbfee6f0e
	;; [unrolled: 1-line block ×4, first 2 shown]
	v_lshrrev_b16 v73, 9, v36
	s_mov_b32 s5, 0x3fe2cf23
	s_mov_b32 s17, 0xbfe2cf23
	;; [unrolled: 1-line block ×4, first 2 shown]
	v_mul_lo_u16 v36, v73, 3
	s_mov_b32 s13, 0x3fd3c6ef
	s_mov_b32 s18, 0x9b97f4a8
	;; [unrolled: 1-line block ×3, first 2 shown]
	v_sub_nc_u16 v36, v199, v36
	v_and_b32_e32 v72, 0xff, v36
	v_mad_u64_u32 v[56:57], null, 0x90, v72, s[2:3]
	s_clause 0x8
	global_load_dwordx4 v[40:43], v[56:57], off offset:32
	global_load_dwordx4 v[48:51], v[56:57], off offset:64
	;; [unrolled: 1-line block ×4, first 2 shown]
	global_load_dwordx4 v[36:39], v[56:57], off
	global_load_dwordx4 v[68:71], v[56:57], off offset:16
	global_load_dwordx4 v[64:67], v[56:57], off offset:48
	;; [unrolled: 1-line block ×4, first 2 shown]
	ds_read_b128 v[74:77], v200 offset:2592
	ds_read_b128 v[78:81], v200 offset:4320
	;; [unrolled: 1-line block ×9, first 2 shown]
	s_waitcnt vmcnt(8) lgkmcnt(8)
	v_mul_f64 v[120:121], v[74:75], v[42:43]
	s_waitcnt vmcnt(7) lgkmcnt(7)
	v_mul_f64 v[122:123], v[80:81], v[50:51]
	v_mul_f64 v[124:125], v[78:79], v[50:51]
	s_waitcnt vmcnt(6) lgkmcnt(6)
	v_mul_f64 v[126:127], v[84:85], v[46:47]
	;; [unrolled: 3-line block ×3, first 2 shown]
	v_mul_f64 v[110:111], v[76:77], v[42:43]
	v_mul_f64 v[132:133], v[88:89], v[54:55]
	s_waitcnt vmcnt(4) lgkmcnt(4)
	v_mul_f64 v[134:135], v[92:93], v[38:39]
	v_mul_f64 v[136:137], v[90:91], v[38:39]
	s_waitcnt vmcnt(3) lgkmcnt(3)
	v_mul_f64 v[138:139], v[96:97], v[70:71]
	v_mul_f64 v[140:141], v[94:95], v[70:71]
	s_waitcnt vmcnt(2) lgkmcnt(2)
	v_mul_f64 v[142:143], v[100:101], v[66:67]
	v_mul_f64 v[144:145], v[98:99], v[66:67]
	s_waitcnt vmcnt(1) lgkmcnt(1)
	v_mul_f64 v[146:147], v[104:105], v[62:63]
	v_mul_f64 v[148:149], v[102:103], v[62:63]
	s_waitcnt vmcnt(0) lgkmcnt(0)
	v_mul_f64 v[150:151], v[106:107], v[58:59]
	v_fma_f64 v[120:121], v[76:77], v[40:41], v[120:121]
	v_fma_f64 v[78:79], v[78:79], v[48:49], -v[122:123]
	v_fma_f64 v[80:81], v[80:81], v[48:49], v[124:125]
	v_fma_f64 v[82:83], v[82:83], v[44:45], -v[126:127]
	v_fma_f64 v[84:85], v[84:85], v[44:45], v[128:129]
	v_fma_f64 v[88:89], v[88:89], v[52:53], v[130:131]
	v_fma_f64 v[110:111], v[74:75], v[40:41], -v[110:111]
	v_fma_f64 v[86:87], v[86:87], v[52:53], -v[132:133]
	v_mul_f64 v[122:123], v[108:109], v[58:59]
	v_fma_f64 v[90:91], v[90:91], v[36:37], -v[134:135]
	v_fma_f64 v[92:93], v[92:93], v[36:37], v[136:137]
	v_fma_f64 v[94:95], v[94:95], v[68:69], -v[138:139]
	v_fma_f64 v[96:97], v[96:97], v[68:69], v[140:141]
	v_fma_f64 v[98:99], v[98:99], v[64:65], -v[142:143]
	v_fma_f64 v[100:101], v[100:101], v[64:65], v[144:145]
	v_fma_f64 v[102:103], v[102:103], v[60:61], -v[146:147]
	v_fma_f64 v[104:105], v[104:105], v[60:61], v[148:149]
	v_fma_f64 v[108:109], v[108:109], v[56:57], v[150:151]
	ds_read_b128 v[74:77], v200
	s_waitcnt lgkmcnt(0)
	s_barrier
	buffer_gl0_inv
	v_add_f64 v[172:173], v[120:121], -v[80:81]
	v_add_f64 v[124:125], v[78:79], v[82:83]
	v_add_f64 v[126:127], v[80:81], v[84:85]
	;; [unrolled: 1-line block ×3, first 2 shown]
	v_add_f64 v[138:139], v[120:121], -v[88:89]
	v_add_f64 v[130:131], v[110:111], v[86:87]
	v_fma_f64 v[106:107], v[106:107], v[56:57], -v[122:123]
	v_add_f64 v[142:143], v[110:111], -v[86:87]
	v_add_f64 v[144:145], v[78:79], -v[82:83]
	v_add_f64 v[140:141], v[80:81], -v[84:85]
	v_add_f64 v[164:165], v[110:111], -v[78:79]
	v_add_f64 v[166:167], v[86:87], -v[82:83]
	v_add_f64 v[174:175], v[88:89], -v[84:85]
	v_add_f64 v[132:133], v[98:99], v[102:103]
	v_add_f64 v[158:159], v[100:101], v[104:105]
	;; [unrolled: 1-line block ×3, first 2 shown]
	v_add_f64 v[176:177], v[80:81], -v[120:121]
	v_add_f64 v[178:179], v[84:85], -v[88:89]
	;; [unrolled: 1-line block ×4, first 2 shown]
	v_add_f64 v[122:123], v[74:75], v[94:95]
	v_add_f64 v[156:157], v[76:77], v[96:97]
	v_add_f64 v[134:135], v[96:97], -v[108:109]
	v_fma_f64 v[124:125], v[124:125], -0.5, v[90:91]
	v_fma_f64 v[126:127], v[126:127], -0.5, v[92:93]
	;; [unrolled: 1-line block ×3, first 2 shown]
	v_add_f64 v[92:93], v[92:93], v[120:121]
	v_fma_f64 v[130:131], v[130:131], -0.5, v[90:91]
	v_add_f64 v[150:151], v[94:95], v[106:107]
	v_add_f64 v[90:91], v[90:91], v[110:111]
	v_add_f64 v[136:137], v[100:101], -v[104:105]
	v_add_f64 v[146:147], v[94:95], -v[98:99]
	;; [unrolled: 1-line block ×6, first 2 shown]
	v_fma_f64 v[110:111], v[132:133], -0.5, v[74:75]
	v_fma_f64 v[120:121], v[158:159], -0.5, v[76:77]
	;; [unrolled: 1-line block ×3, first 2 shown]
	v_add_f64 v[132:133], v[164:165], v[166:167]
	v_add_f64 v[158:159], v[172:173], v[174:175]
	;; [unrolled: 1-line block ×3, first 2 shown]
	v_add_f64 v[154:155], v[102:103], -v[106:107]
	v_add_f64 v[188:189], v[96:97], -v[100:101]
	;; [unrolled: 1-line block ×3, first 2 shown]
	v_fma_f64 v[186:187], v[138:139], s[14:15], v[124:125]
	v_fma_f64 v[180:181], v[142:143], s[14:15], v[126:127]
	;; [unrolled: 1-line block ×8, first 2 shown]
	v_fma_f64 v[74:75], v[150:151], -0.5, v[74:75]
	v_add_f64 v[150:151], v[168:169], v[170:171]
	v_add_f64 v[98:99], v[122:123], v[98:99]
	;; [unrolled: 1-line block ×5, first 2 shown]
	v_add_f64 v[190:191], v[108:109], -v[104:105]
	v_add_f64 v[122:123], v[146:147], v[148:149]
	v_fma_f64 v[90:91], v[134:135], s[0:1], v[110:111]
	v_fma_f64 v[92:93], v[134:135], s[14:15], v[110:111]
	v_add_f64 v[202:203], v[104:105], -v[108:109]
	v_fma_f64 v[170:171], v[140:141], s[16:17], v[186:187]
	v_fma_f64 v[164:165], v[144:145], s[16:17], v[180:181]
	;; [unrolled: 1-line block ×12, first 2 shown]
	v_add_f64 v[138:139], v[152:153], v[154:155]
	v_fma_f64 v[74:75], v[136:137], s[0:1], v[74:75]
	v_fma_f64 v[120:121], v[94:95], s[0:1], v[120:121]
	v_add_f64 v[98:99], v[98:99], v[102:103]
	v_add_f64 v[100:101], v[100:101], v[104:105]
	;; [unrolled: 1-line block ×4, first 2 shown]
	v_fma_f64 v[82:83], v[136:137], s[4:5], v[90:91]
	v_fma_f64 v[84:85], v[136:137], s[16:17], v[92:93]
	v_add_f64 v[96:97], v[96:97], v[202:203]
	v_fma_f64 v[152:153], v[132:133], s[12:13], v[170:171]
	v_fma_f64 v[144:145], v[158:159], s[12:13], v[164:165]
	;; [unrolled: 1-line block ×8, first 2 shown]
	v_add_f64 v[132:133], v[188:189], v[190:191]
	v_fma_f64 v[90:91], v[134:135], s[4:5], v[110:111]
	v_fma_f64 v[92:93], v[160:161], s[16:17], v[140:141]
	;; [unrolled: 1-line block ×6, first 2 shown]
	v_add_f64 v[98:99], v[98:99], v[106:107]
	v_add_f64 v[100:101], v[100:101], v[108:109]
	;; [unrolled: 1-line block ×4, first 2 shown]
	v_fma_f64 v[106:107], v[122:123], s[12:13], v[82:83]
	v_fma_f64 v[108:109], v[122:123], s[12:13], v[84:85]
	v_mul_f64 v[134:135], v[152:153], s[18:19]
	v_mul_f64 v[94:95], v[144:145], s[4:5]
	;; [unrolled: 1-line block ×8, first 2 shown]
	v_fma_f64 v[122:123], v[138:139], s[12:13], v[90:91]
	v_fma_f64 v[154:155], v[132:133], s[12:13], v[92:93]
	;; [unrolled: 1-line block ×6, first 2 shown]
	v_mov_b32_e32 v74, 30
	v_add_f64 v[75:76], v[100:101], v[80:81]
	v_mul_u32_u24_sdwa v97, v73, v74 dst_sel:DWORD dst_unused:UNUSED_PAD src0_sel:WORD_0 src1_sel:DWORD
	v_fma_f64 v[126:127], v[126:127], s[4:5], -v[134:135]
	v_fma_f64 v[124:125], v[124:125], s[18:19], v[94:95]
	v_fma_f64 v[110:111], v[130:131], s[12:13], v[110:111]
	;; [unrolled: 1-line block ×3, first 2 shown]
	v_fma_f64 v[128:129], v[128:129], s[0:1], -v[120:121]
	v_fma_f64 v[134:135], v[146:147], s[12:13], v[140:141]
	v_fma_f64 v[136:137], v[148:149], s[14:15], -v[142:143]
	v_fma_f64 v[146:147], v[152:153], s[16:17], -v[150:151]
	v_add_f64 v[73:74], v[98:99], v[78:79]
	v_add_f64 v[77:78], v[98:99], -v[78:79]
	v_add_f64 v[79:80], v[100:101], -v[80:81]
	v_add_nc_u32_e32 v72, v97, v72
	v_cmp_gt_u16_e64 s0, 36, v199
	v_lshl_add_u32 v210, v72, 4, v201
	v_add_f64 v[93:94], v[108:109], v[126:127]
	v_add_f64 v[81:82], v[106:107], v[124:125]
	;; [unrolled: 1-line block ×8, first 2 shown]
	v_add_f64 v[120:121], v[106:107], -v[124:125]
	v_add_f64 v[140:141], v[122:123], -v[110:111]
	;; [unrolled: 1-line block ×8, first 2 shown]
	ds_write_b128 v210, v[73:76]
	ds_write_b128 v210, v[77:80] offset:240
	ds_write_b128 v210, v[81:84] offset:48
	;; [unrolled: 1-line block ×9, first 2 shown]
	s_waitcnt lgkmcnt(0)
	s_barrier
	buffer_gl0_inv
	ds_read_b128 v[128:131], v200
	ds_read_b128 v[148:151], v200 offset:1440
	ds_read_b128 v[132:135], v200 offset:2880
	;; [unrolled: 1-line block ×5, first 2 shown]
	s_and_saveexec_b32 s1, s0
	s_cbranch_execz .LBB0_9
; %bb.8:
	ds_read_b128 v[120:123], v200 offset:864
	ds_read_b128 v[140:143], v200 offset:2304
	;; [unrolled: 1-line block ×6, first 2 shown]
.LBB0_9:
	s_or_b32 exec_lo, exec_lo, s1
	v_and_b32_e32 v72, 0xff, v213
	v_subrev_nc_u32_e32 v73, 30, v199
	v_cmp_gt_u16_e64 s1, 30, v199
	s_mov_b32 s4, 0xe8584caa
	s_mov_b32 s5, 0x3febb67a
	v_mul_lo_u16 v72, 0x89, v72
	s_mov_b32 s13, 0xbfebb67a
	v_cndmask_b32_e64 v211, v73, v199, s1
	s_mov_b32 s12, s4
	v_lshrrev_b16 v202, 12, v72
	v_mul_i32_i24_e32 v73, 0x50, v211
	v_mul_hi_i32_i24_e32 v74, 0x50, v211
	v_mul_lo_u16 v72, v202, 30
	v_add_co_u32 v76, s1, s2, v73
	v_add_co_ci_u32_e64 v77, s1, s3, v74, s1
	v_sub_nc_u16 v72, v213, v72
	v_cmp_lt_u16_e64 s1, 29, v199
	global_load_dwordx4 v[100:103], v[76:77], off offset:464
	v_and_b32_e32 v203, 0xff, v72
	v_mad_u64_u32 v[78:79], null, 0x50, v203, s[2:3]
	s_clause 0x8
	global_load_dwordx4 v[104:107], v[76:77], off offset:496
	global_load_dwordx4 v[96:99], v[78:79], off offset:464
	;; [unrolled: 1-line block ×9, first 2 shown]
	s_waitcnt vmcnt(0) lgkmcnt(0)
	s_barrier
	buffer_gl0_inv
	v_mul_f64 v[160:161], v[154:155], v[102:103]
	v_mul_f64 v[162:163], v[152:153], v[102:103]
	;; [unrolled: 1-line block ×12, first 2 shown]
	v_fma_f64 v[152:153], v[152:153], v[100:101], -v[160:161]
	v_fma_f64 v[154:155], v[154:155], v[100:101], v[162:163]
	v_mul_f64 v[160:161], v[142:143], v[74:75]
	v_mul_f64 v[162:163], v[140:141], v[74:75]
	v_fma_f64 v[158:159], v[158:159], v[104:105], v[164:165]
	v_fma_f64 v[156:157], v[156:157], v[104:105], -v[166:167]
	v_fma_f64 v[144:145], v[144:145], v[96:97], -v[168:169]
	v_fma_f64 v[146:147], v[146:147], v[96:97], v[170:171]
	v_fma_f64 v[118:119], v[118:119], v[108:109], v[172:173]
	v_fma_f64 v[116:117], v[116:117], v[108:109], -v[174:175]
	v_mul_f64 v[164:165], v[134:135], v[94:95]
	v_mul_f64 v[166:167], v[132:133], v[94:95]
	;; [unrolled: 1-line block ×4, first 2 shown]
	v_fma_f64 v[148:149], v[148:149], v[84:85], -v[176:177]
	v_fma_f64 v[150:151], v[150:151], v[84:85], v[178:179]
	v_mul_f64 v[176:177], v[126:127], v[82:83]
	v_mul_f64 v[178:179], v[124:125], v[82:83]
	v_fma_f64 v[112:113], v[112:113], v[76:77], -v[180:181]
	v_fma_f64 v[114:115], v[114:115], v[76:77], v[182:183]
	v_fma_f64 v[140:141], v[140:141], v[72:73], -v[160:161]
	v_fma_f64 v[142:143], v[142:143], v[72:73], v[162:163]
	v_add_f64 v[172:173], v[154:155], v[158:159]
	v_add_f64 v[174:175], v[152:153], v[156:157]
	;; [unrolled: 1-line block ×4, first 2 shown]
	v_fma_f64 v[132:133], v[132:133], v[92:93], -v[164:165]
	v_fma_f64 v[134:135], v[134:135], v[92:93], v[166:167]
	v_fma_f64 v[136:137], v[136:137], v[88:89], -v[168:169]
	v_fma_f64 v[138:139], v[138:139], v[88:89], v[170:171]
	v_add_f64 v[164:165], v[154:155], -v[158:159]
	v_add_f64 v[166:167], v[152:153], -v[156:157]
	v_fma_f64 v[124:125], v[124:125], v[80:81], -v[176:177]
	v_fma_f64 v[126:127], v[126:127], v[80:81], v[178:179]
	v_fma_f64 v[168:169], v[172:173], -0.5, v[150:151]
	v_fma_f64 v[170:171], v[174:175], -0.5, v[148:149]
	v_add_f64 v[172:173], v[146:147], -v[118:119]
	v_add_f64 v[174:175], v[144:145], -v[116:117]
	v_fma_f64 v[160:161], v[160:161], -0.5, v[142:143]
	v_fma_f64 v[162:163], v[162:163], -0.5, v[140:141]
	v_add_f64 v[178:179], v[128:129], v[132:133]
	v_add_f64 v[148:149], v[148:149], v[152:153]
	;; [unrolled: 1-line block ×4, first 2 shown]
	v_add_f64 v[182:183], v[134:135], -v[138:139]
	v_add_f64 v[134:135], v[130:131], v[134:135]
	v_add_f64 v[132:133], v[132:133], -v[136:137]
	v_add_f64 v[150:151], v[150:151], v[154:155]
	v_add_f64 v[152:153], v[120:121], v[124:125]
	;; [unrolled: 1-line block ×5, first 2 shown]
	v_fma_f64 v[184:185], v[166:167], s[12:13], v[168:169]
	v_fma_f64 v[186:187], v[164:165], s[12:13], v[170:171]
	;; [unrolled: 1-line block ×4, first 2 shown]
	v_add_f64 v[168:169], v[124:125], v[112:113]
	v_add_f64 v[170:171], v[126:127], v[114:115]
	v_fma_f64 v[188:189], v[174:175], s[12:13], v[160:161]
	v_fma_f64 v[190:191], v[172:173], s[12:13], v[162:163]
	;; [unrolled: 1-line block ×4, first 2 shown]
	v_fma_f64 v[128:129], v[176:177], -0.5, v[128:129]
	v_add_f64 v[126:127], v[126:127], -v[114:115]
	v_fma_f64 v[130:131], v[180:181], -0.5, v[130:131]
	v_add_f64 v[124:125], v[124:125], -v[112:113]
	v_add_f64 v[176:177], v[178:179], v[136:137]
	v_add_f64 v[148:149], v[148:149], v[156:157]
	;; [unrolled: 1-line block ×4, first 2 shown]
	v_mul_f64 v[144:145], v[184:185], s[4:5]
	v_mul_f64 v[146:147], v[186:187], -0.5
	v_mul_f64 v[172:173], v[164:165], s[12:13]
	v_mul_f64 v[174:175], v[166:167], -0.5
	v_fma_f64 v[168:169], v[168:169], -0.5, v[120:121]
	v_fma_f64 v[136:137], v[170:171], -0.5, v[122:123]
	v_add_f64 v[170:171], v[134:135], v[138:139]
	v_mul_f64 v[134:135], v[188:189], s[4:5]
	v_mul_f64 v[138:139], v[190:191], -0.5
	v_mul_f64 v[178:179], v[162:163], s[12:13]
	v_mul_f64 v[180:181], v[160:161], -0.5
	v_add_f64 v[120:121], v[154:155], v[114:115]
	v_add_f64 v[114:115], v[140:141], v[116:117]
	;; [unrolled: 1-line block ×3, first 2 shown]
	v_fma_f64 v[156:157], v[182:183], s[4:5], v[128:129]
	v_fma_f64 v[158:159], v[182:183], s[12:13], v[128:129]
	;; [unrolled: 1-line block ×4, first 2 shown]
	v_add_f64 v[140:141], v[176:177], -v[148:149]
	v_fma_f64 v[164:165], v[164:165], 0.5, v[144:145]
	v_fma_f64 v[166:167], v[166:167], s[4:5], v[146:147]
	v_fma_f64 v[172:173], v[184:185], 0.5, v[172:173]
	v_fma_f64 v[174:175], v[186:187], s[12:13], v[174:175]
	v_fma_f64 v[116:117], v[126:127], s[4:5], v[168:169]
	;; [unrolled: 1-line block ×5, first 2 shown]
	v_fma_f64 v[124:125], v[162:163], 0.5, v[134:135]
	v_fma_f64 v[126:127], v[160:161], s[4:5], v[138:139]
	v_fma_f64 v[132:133], v[188:189], 0.5, v[178:179]
	v_fma_f64 v[134:135], v[190:191], s[12:13], v[180:181]
	v_add_f64 v[136:137], v[176:177], v[148:149]
	v_add_f64 v[138:139], v[170:171], v[150:151]
	v_add_f64 v[144:145], v[112:113], -v[114:115]
	v_add_f64 v[146:147], v[120:121], -v[122:123]
	;; [unrolled: 1-line block ×3, first 2 shown]
	v_add_f64 v[148:149], v[156:157], v[164:165]
	v_add_f64 v[152:153], v[158:159], v[166:167]
	v_add_f64 v[156:157], v[156:157], -v[164:165]
	v_add_f64 v[168:169], v[158:159], -v[166:167]
	v_add_f64 v[150:151], v[182:183], v[172:173]
	v_add_f64 v[154:155], v[216:217], v[174:175]
	v_add_f64 v[158:159], v[182:183], -v[172:173]
	v_add_f64 v[170:171], v[216:217], -v[174:175]
	;; [unrolled: 1-line block ×6, first 2 shown]
	v_cndmask_b32_e64 v172, 0, 0xb4, s1
	v_add_nc_u32_e32 v172, v211, v172
	v_lshl_add_u32 v211, v172, 4, v201
	ds_write_b128 v211, v[136:139]
	ds_write_b128 v211, v[148:151] offset:480
	ds_write_b128 v211, v[152:155] offset:960
	;; [unrolled: 1-line block ×5, first 2 shown]
	s_and_saveexec_b32 s1, s0
	s_cbranch_execz .LBB0_11
; %bb.10:
	v_add_f64 v[122:123], v[120:121], v[122:123]
	v_add_f64 v[120:121], v[112:113], v[114:115]
	v_mov_b32_e32 v112, 0xb4
	v_add_f64 v[130:131], v[130:131], v[134:135]
	v_add_f64 v[134:135], v[128:129], v[132:133]
	;; [unrolled: 1-line block ×4, first 2 shown]
	v_mul_u32_u24_sdwa v112, v202, v112 dst_sel:DWORD dst_unused:UNUSED_PAD src0_sel:WORD_0 src1_sel:DWORD
	v_add_nc_u32_e32 v112, v112, v203
	v_lshl_add_u32 v112, v112, 4, v201
	ds_write_b128 v112, v[144:147] offset:1440
	ds_write_b128 v112, v[160:163] offset:1920
	ds_write_b128 v112, v[120:123]
	ds_write_b128 v112, v[132:135] offset:480
	ds_write_b128 v112, v[128:131] offset:960
	;; [unrolled: 1-line block ×3, first 2 shown]
.LBB0_11:
	s_or_b32 exec_lo, exec_lo, s1
	s_waitcnt lgkmcnt(0)
	s_barrier
	buffer_gl0_inv
	ds_read_b128 v[152:155], v200
	ds_read_b128 v[148:151], v200 offset:864
	ds_read_b128 v[180:183], v200 offset:5760
	;; [unrolled: 1-line block ×8, first 2 shown]
	s_and_saveexec_b32 s1, vcc_lo
	s_cbranch_execz .LBB0_13
; %bb.12:
	ds_read_b128 v[144:147], v200 offset:2592
	ds_read_b128 v[160:163], v200 offset:5472
	;; [unrolled: 1-line block ×3, first 2 shown]
.LBB0_13:
	s_or_b32 exec_lo, exec_lo, s1
	v_lshlrev_b32_e32 v112, 5, v199
	v_lshlrev_b32_e32 v116, 5, v213
	s_mov_b32 s5, 0xbfebb67a
	v_add_co_u32 v114, s1, s2, v112
	v_add_co_ci_u32_e64 v115, null, s3, 0, s1
	v_add_co_u32 v112, s1, 0xb10, v114
	v_add_co_ci_u32_e64 v113, s1, 0, v115, s1
	v_add_co_u32 v118, s1, s2, v116
	v_add_co_ci_u32_e64 v119, null, s3, 0, s1
	v_add_co_u32 v114, s1, 0x800, v114
	v_add_co_ci_u32_e64 v115, s1, 0, v115, s1
	v_add_co_u32 v116, s1, 0xb10, v118
	v_add_co_ci_u32_e64 v117, s1, 0, v119, s1
	;; [unrolled: 2-line block ×3, first 2 shown]
	v_add_co_u32 v136, s1, 0xffffffee, v199
	v_add_co_ci_u32_e64 v137, null, 0, -1, s1
	s_clause 0x1
	global_load_dwordx4 v[128:131], v[114:115], off offset:784
	global_load_dwordx4 v[132:135], v[112:113], off offset:16
	v_lshlrev_b32_e32 v114, 5, v212
	v_cndmask_b32_e32 v112, v136, v214, vcc_lo
	v_cndmask_b32_e32 v113, v137, v215, vcc_lo
	s_clause 0x1
	global_load_dwordx4 v[120:123], v[118:119], off offset:784
	global_load_dwordx4 v[124:127], v[116:117], off offset:16
	v_add_co_u32 v116, s1, s2, v114
	v_add_co_ci_u32_e64 v117, null, s3, 0, s1
	v_lshlrev_b64 v[112:113], 5, v[112:113]
	v_add_co_u32 v114, s1, 0xb10, v116
	v_add_co_ci_u32_e64 v115, s1, 0, v117, s1
	v_add_co_u32 v118, s1, s2, v112
	v_add_co_ci_u32_e64 v119, s1, s3, v113, s1
	;; [unrolled: 2-line block ×5, first 2 shown]
	s_clause 0x3
	global_load_dwordx4 v[136:139], v[112:113], off offset:784
	global_load_dwordx4 v[140:143], v[114:115], off offset:16
	;; [unrolled: 1-line block ×4, first 2 shown]
	s_mov_b32 s2, 0xe8584caa
	s_mov_b32 s3, 0x3febb67a
	;; [unrolled: 1-line block ×3, first 2 shown]
	s_waitcnt vmcnt(7) lgkmcnt(4)
	v_mul_f64 v[212:213], v[190:191], v[130:131]
	v_mul_f64 v[214:215], v[188:189], v[130:131]
	s_waitcnt vmcnt(6)
	v_mul_f64 v[216:217], v[182:183], v[134:135]
	v_mul_f64 v[218:219], v[180:181], v[134:135]
	s_waitcnt vmcnt(5) lgkmcnt(2)
	v_mul_f64 v[220:221], v[186:187], v[122:123]
	s_waitcnt vmcnt(4)
	v_mul_f64 v[222:223], v[170:171], v[126:127]
	v_mul_f64 v[224:225], v[184:185], v[122:123]
	;; [unrolled: 1-line block ×3, first 2 shown]
	v_fma_f64 v[188:189], v[188:189], v[128:129], -v[212:213]
	v_fma_f64 v[190:191], v[190:191], v[128:129], v[214:215]
	v_fma_f64 v[180:181], v[180:181], v[132:133], -v[216:217]
	v_fma_f64 v[182:183], v[182:183], v[132:133], v[218:219]
	v_fma_f64 v[184:185], v[184:185], v[120:121], -v[220:221]
	v_fma_f64 v[168:169], v[168:169], v[124:125], -v[222:223]
	v_fma_f64 v[186:187], v[186:187], v[120:121], v[224:225]
	v_fma_f64 v[170:171], v[170:171], v[124:125], v[226:227]
	s_waitcnt vmcnt(3) lgkmcnt(1)
	v_mul_f64 v[228:229], v[174:175], v[138:139]
	s_waitcnt vmcnt(2) lgkmcnt(0)
	v_mul_f64 v[230:231], v[178:179], v[142:143]
	s_waitcnt vmcnt(1)
	v_mul_f64 v[236:237], v[162:163], v[114:115]
	s_waitcnt vmcnt(0)
	v_mul_f64 v[238:239], v[166:167], v[118:119]
	v_mul_f64 v[240:241], v[160:161], v[114:115]
	v_mul_f64 v[242:243], v[164:165], v[118:119]
	v_mul_f64 v[232:233], v[172:173], v[138:139]
	v_mul_f64 v[234:235], v[176:177], v[142:143]
	v_add_f64 v[222:223], v[152:153], v[188:189]
	v_add_f64 v[226:227], v[190:191], -v[182:183]
	v_add_f64 v[216:217], v[184:185], v[168:169]
	v_add_f64 v[218:219], v[186:187], v[170:171]
	v_fma_f64 v[172:173], v[172:173], v[136:137], -v[228:229]
	v_fma_f64 v[176:177], v[176:177], v[140:141], -v[230:231]
	v_fma_f64 v[160:161], v[160:161], v[112:113], -v[236:237]
	v_fma_f64 v[212:213], v[164:165], v[116:117], -v[238:239]
	v_fma_f64 v[162:163], v[162:163], v[112:113], v[240:241]
	v_fma_f64 v[214:215], v[166:167], v[116:117], v[242:243]
	;; [unrolled: 1-line block ×4, first 2 shown]
	v_add_f64 v[164:165], v[188:189], v[180:181]
	v_add_f64 v[166:167], v[190:191], v[182:183]
	v_add_f64 v[190:191], v[154:155], v[190:191]
	v_add_f64 v[188:189], v[188:189], -v[180:181]
	v_add_f64 v[232:233], v[148:149], v[184:185]
	v_add_f64 v[234:235], v[150:151], v[186:187]
	v_add_f64 v[186:187], v[186:187], -v[170:171]
	v_add_f64 v[184:185], v[184:185], -v[168:169]
	v_fma_f64 v[148:149], v[216:217], -0.5, v[148:149]
	v_fma_f64 v[150:151], v[218:219], -0.5, v[150:151]
	v_add_f64 v[236:237], v[156:157], v[172:173]
	v_add_f64 v[220:221], v[172:173], v[176:177]
	;; [unrolled: 1-line block ×8, first 2 shown]
	v_fma_f64 v[152:153], v[164:165], -0.5, v[152:153]
	v_fma_f64 v[154:155], v[166:167], -0.5, v[154:155]
	v_add_f64 v[244:245], v[162:163], -v[214:215]
	v_add_f64 v[246:247], v[160:161], -v[212:213]
	;; [unrolled: 1-line block ×4, first 2 shown]
	v_add_f64 v[160:161], v[232:233], v[168:169]
	v_add_f64 v[162:163], v[234:235], v[170:171]
	;; [unrolled: 1-line block ×3, first 2 shown]
	v_fma_f64 v[220:221], v[220:221], -0.5, v[156:157]
	v_add_f64 v[156:157], v[222:223], v[180:181]
	v_fma_f64 v[228:229], v[228:229], -0.5, v[144:145]
	v_add_f64 v[144:145], v[240:241], v[212:213]
	;; [unrolled: 2-line block ×4, first 2 shown]
	v_add_f64 v[146:147], v[242:243], v[214:215]
	v_fma_f64 v[168:169], v[226:227], s[2:3], v[152:153]
	v_fma_f64 v[172:173], v[226:227], s[4:5], v[152:153]
	;; [unrolled: 1-line block ×8, first 2 shown]
	v_lshl_add_u32 v212, v198, 4, v197
	v_fma_f64 v[184:185], v[216:217], s[2:3], v[220:221]
	v_fma_f64 v[188:189], v[216:217], s[4:5], v[220:221]
	v_fma_f64 v[148:149], v[244:245], s[2:3], v[228:229]
	v_fma_f64 v[152:153], v[244:245], s[4:5], v[228:229]
	v_fma_f64 v[150:151], v[246:247], s[4:5], v[222:223]
	v_fma_f64 v[154:155], v[246:247], s[2:3], v[222:223]
	v_fma_f64 v[186:187], v[218:219], s[4:5], v[224:225]
	v_fma_f64 v[190:191], v[218:219], s[2:3], v[224:225]
	ds_write_b128 v200, v[156:159]
	ds_write_b128 v200, v[168:171] offset:2880
	ds_write_b128 v200, v[172:175] offset:5760
	;; [unrolled: 1-line block ×8, first 2 shown]
	s_and_saveexec_b32 s1, vcc_lo
	s_cbranch_execz .LBB0_15
; %bb.14:
	ds_write_b128 v200, v[144:147] offset:2592
	ds_write_b128 v200, v[148:151] offset:5472
	;; [unrolled: 1-line block ×3, first 2 shown]
.LBB0_15:
	s_or_b32 exec_lo, exec_lo, s1
	v_add_co_u32 v197, s1, 0x2000, v204
	v_add_co_ci_u32_e64 v198, s1, 0, v205, s1
	s_waitcnt lgkmcnt(0)
	s_barrier
	buffer_gl0_inv
	global_load_dwordx4 v[158:161], v[197:198], off offset:448
	v_add_co_u32 v156, s1, 0x2800, v204
	v_add_co_ci_u32_e64 v157, s1, 0, v205, s1
	v_add_co_u32 v190, s1, 0x3800, v204
	v_add_co_ci_u32_e64 v191, s1, 0, v205, s1
	global_load_dwordx4 v[162:165], v[156:157], off offset:1280
	v_add_co_u32 v156, s1, 0x21c0, v204
	global_load_dwordx4 v[166:169], v[190:191], off offset:64
	v_add_co_ci_u32_e64 v157, s1, 0, v205, s1
	v_add_co_u32 v204, s1, 0x3000, v204
	v_add_co_ci_u32_e64 v205, s1, 0, v205, s1
	s_clause 0x1
	global_load_dwordx4 v[170:173], v[156:157], off offset:864
	global_load_dwordx4 v[174:177], v[204:205], off offset:96
	ds_read_b128 v[178:181], v200
	ds_read_b128 v[182:185], v200 offset:864
	ds_read_b128 v[186:189], v200 offset:2880
	ds_read_b128 v[213:216], v200 offset:5760
	ds_read_b128 v[217:220], v200 offset:1728
	s_waitcnt vmcnt(4) lgkmcnt(4)
	v_mul_f64 v[221:222], v[180:181], v[160:161]
	v_mul_f64 v[160:161], v[178:179], v[160:161]
	s_waitcnt vmcnt(3) lgkmcnt(2)
	v_mul_f64 v[223:224], v[188:189], v[164:165]
	v_mul_f64 v[164:165], v[186:187], v[164:165]
	s_waitcnt vmcnt(1)
	v_mul_f64 v[225:226], v[184:185], v[172:173]
	v_mul_f64 v[172:173], v[182:183], v[172:173]
	v_fma_f64 v[178:179], v[178:179], v[158:159], -v[221:222]
	s_waitcnt lgkmcnt(1)
	v_mul_f64 v[221:222], v[215:216], v[168:169]
	v_mul_f64 v[168:169], v[213:214], v[168:169]
	v_fma_f64 v[180:181], v[180:181], v[158:159], v[160:161]
	ds_read_b128 v[158:161], v200 offset:6624
	v_fma_f64 v[186:187], v[186:187], v[162:163], -v[223:224]
	v_fma_f64 v[188:189], v[188:189], v[162:163], v[164:165]
	global_load_dwordx4 v[162:165], v[156:157], off offset:1728
	v_fma_f64 v[182:183], v[182:183], v[170:171], -v[225:226]
	v_fma_f64 v[184:185], v[184:185], v[170:171], v[172:173]
	v_fma_f64 v[213:214], v[213:214], v[166:167], -v[221:222]
	v_fma_f64 v[215:216], v[215:216], v[166:167], v[168:169]
	ds_read_b128 v[166:169], v200 offset:3744
	ds_read_b128 v[221:224], v200 offset:4608
	global_load_dwordx4 v[170:173], v[204:205], off offset:960
	s_waitcnt vmcnt(2) lgkmcnt(1)
	v_mul_f64 v[204:205], v[168:169], v[176:177]
	v_mul_f64 v[176:177], v[166:167], v[176:177]
	v_fma_f64 v[166:167], v[166:167], v[174:175], -v[204:205]
	v_fma_f64 v[168:169], v[168:169], v[174:175], v[176:177]
	s_clause 0x1
	global_load_dwordx4 v[174:177], v[190:191], off offset:928
	global_load_dwordx4 v[225:228], v[190:191], off offset:1792
	s_waitcnt vmcnt(1)
	v_mul_f64 v[190:191], v[160:161], v[176:177]
	v_mul_f64 v[176:177], v[158:159], v[176:177]
	v_fma_f64 v[158:159], v[158:159], v[174:175], -v[190:191]
	v_mul_f64 v[190:191], v[219:220], v[164:165]
	v_mul_f64 v[164:165], v[217:218], v[164:165]
	v_fma_f64 v[160:161], v[160:161], v[174:175], v[176:177]
	ds_read_b128 v[174:177], v200 offset:7488
	v_fma_f64 v[217:218], v[217:218], v[162:163], -v[190:191]
	v_fma_f64 v[219:220], v[219:220], v[162:163], v[164:165]
	s_waitcnt lgkmcnt(1)
	v_mul_f64 v[162:163], v[223:224], v[172:173]
	v_mul_f64 v[164:165], v[221:222], v[172:173]
	s_waitcnt vmcnt(0) lgkmcnt(0)
	v_mul_f64 v[172:173], v[176:177], v[227:228]
	v_mul_f64 v[190:191], v[174:175], v[227:228]
	v_fma_f64 v[162:163], v[221:222], v[170:171], -v[162:163]
	v_fma_f64 v[164:165], v[223:224], v[170:171], v[164:165]
	v_fma_f64 v[170:171], v[174:175], v[225:226], -v[172:173]
	v_fma_f64 v[172:173], v[176:177], v[225:226], v[190:191]
	ds_write_b128 v200, v[178:181]
	ds_write_b128 v200, v[186:189] offset:2880
	ds_write_b128 v200, v[213:216] offset:5760
	ds_write_b128 v200, v[182:185] offset:864
	ds_write_b128 v200, v[166:169] offset:3744
	ds_write_b128 v200, v[158:161] offset:6624
	ds_write_b128 v200, v[217:220] offset:1728
	ds_write_b128 v200, v[162:165] offset:4608
	ds_write_b128 v200, v[170:173] offset:7488
	s_and_saveexec_b32 s2, vcc_lo
	s_cbranch_execz .LBB0_17
; %bb.16:
	v_add_co_u32 v158, s1, 0x800, v156
	v_add_co_ci_u32_e64 v159, s1, 0, v157, s1
	v_add_co_u32 v160, s1, 0x1000, v156
	v_add_co_ci_u32_e64 v161, s1, 0, v157, s1
	v_add_co_u32 v164, s1, 0x2000, v156
	v_add_co_ci_u32_e64 v165, s1, 0, v157, s1
	s_clause 0x2
	global_load_dwordx4 v[156:159], v[158:159], off offset:544
	global_load_dwordx4 v[160:163], v[160:161], off offset:1376
	;; [unrolled: 1-line block ×3, first 2 shown]
	ds_read_b128 v[168:171], v200 offset:2592
	ds_read_b128 v[172:175], v200 offset:5472
	;; [unrolled: 1-line block ×3, first 2 shown]
	s_waitcnt vmcnt(2) lgkmcnt(2)
	v_mul_f64 v[180:181], v[170:171], v[158:159]
	v_mul_f64 v[158:159], v[168:169], v[158:159]
	s_waitcnt vmcnt(1) lgkmcnt(1)
	v_mul_f64 v[182:183], v[174:175], v[162:163]
	v_mul_f64 v[162:163], v[172:173], v[162:163]
	;; [unrolled: 3-line block ×3, first 2 shown]
	v_fma_f64 v[166:167], v[168:169], v[156:157], -v[180:181]
	v_fma_f64 v[168:169], v[170:171], v[156:157], v[158:159]
	v_fma_f64 v[156:157], v[172:173], v[160:161], -v[182:183]
	v_fma_f64 v[158:159], v[174:175], v[160:161], v[162:163]
	v_fma_f64 v[160:161], v[176:177], v[164:165], -v[184:185]
	v_fma_f64 v[162:163], v[178:179], v[164:165], v[186:187]
	ds_write_b128 v200, v[166:169] offset:2592
	ds_write_b128 v200, v[156:159] offset:5472
	ds_write_b128 v200, v[160:163] offset:8352
.LBB0_17:
	s_or_b32 exec_lo, exec_lo, s2
	s_waitcnt lgkmcnt(0)
	s_barrier
	buffer_gl0_inv
	ds_read_b128 v[176:179], v200
	ds_read_b128 v[172:175], v200 offset:864
	ds_read_b128 v[160:163], v200 offset:5760
	;; [unrolled: 1-line block ×8, first 2 shown]
	s_and_saveexec_b32 s1, vcc_lo
	s_cbranch_execz .LBB0_19
; %bb.18:
	ds_read_b128 v[144:147], v200 offset:2592
	ds_read_b128 v[148:151], v200 offset:5472
	ds_read_b128 v[152:155], v200 offset:8352
.LBB0_19:
	s_or_b32 exec_lo, exec_lo, s1
	s_waitcnt lgkmcnt(4)
	v_add_f64 v[204:205], v[188:189], v[160:161]
	v_add_f64 v[213:214], v[190:191], v[162:163]
	s_waitcnt lgkmcnt(2)
	v_add_f64 v[215:216], v[184:185], v[164:165]
	v_add_f64 v[217:218], v[186:187], v[166:167]
	;; [unrolled: 3-line block ×3, first 2 shown]
	v_add_f64 v[219:220], v[180:181], v[156:157]
	v_add_f64 v[223:224], v[182:183], v[158:159]
	;; [unrolled: 1-line block ×3, first 2 shown]
	v_add_f64 v[225:226], v[190:191], -v[162:163]
	v_add_f64 v[190:191], v[178:179], v[190:191]
	v_add_f64 v[188:189], v[188:189], -v[160:161]
	v_add_f64 v[237:238], v[170:171], v[182:183]
	v_add_f64 v[241:242], v[150:151], -v[154:155]
	v_add_f64 v[243:244], v[148:149], -v[152:153]
	v_add_f64 v[231:232], v[172:173], v[184:185]
	v_add_f64 v[233:234], v[174:175], v[186:187]
	v_add_f64 v[186:187], v[186:187], -v[166:167]
	v_add_f64 v[235:236], v[182:183], -v[158:159]
	;; [unrolled: 1-line block ×3, first 2 shown]
	s_mov_b32 s2, 0xe8584caa
	s_mov_b32 s3, 0xbfebb67a
	v_fma_f64 v[176:177], v[204:205], -0.5, v[176:177]
	v_fma_f64 v[178:179], v[213:214], -0.5, v[178:179]
	;; [unrolled: 1-line block ×4, first 2 shown]
	v_add_f64 v[217:218], v[168:169], v[180:181]
	v_fma_f64 v[227:228], v[227:228], -0.5, v[144:145]
	v_fma_f64 v[229:230], v[229:230], -0.5, v[146:147]
	v_add_f64 v[213:214], v[184:185], -v[164:165]
	v_fma_f64 v[219:220], v[219:220], -0.5, v[168:169]
	v_fma_f64 v[223:224], v[223:224], -0.5, v[170:171]
	s_mov_b32 s5, 0x3febb67a
	s_mov_b32 s4, s2
	v_add_f64 v[168:169], v[221:222], v[160:161]
	v_add_f64 v[170:171], v[190:191], v[162:163]
	;; [unrolled: 1-line block ×5, first 2 shown]
	s_barrier
	buffer_gl0_inv
	v_fma_f64 v[172:173], v[225:226], s[2:3], v[176:177]
	v_fma_f64 v[174:175], v[188:189], s[4:5], v[178:179]
	;; [unrolled: 1-line block ×4, first 2 shown]
	v_add_f64 v[188:189], v[217:218], v[156:157]
	v_fma_f64 v[156:157], v[241:242], s[2:3], v[227:228]
	v_fma_f64 v[160:161], v[241:242], s[4:5], v[227:228]
	;; [unrolled: 1-line block ×12, first 2 shown]
	ds_write_b128 v208, v[168:171]
	ds_write_b128 v208, v[172:175] offset:16
	ds_write_b128 v208, v[176:179] offset:32
	ds_write_b128 v209, v[164:167]
	ds_write_b128 v209, v[180:183] offset:16
	ds_write_b128 v209, v[184:187] offset:32
	;; [unrolled: 3-line block ×3, first 2 shown]
	s_and_saveexec_b32 s1, vcc_lo
	s_cbranch_execz .LBB0_21
; %bb.20:
	v_add_f64 v[146:147], v[146:147], v[150:151]
	v_add_f64 v[144:145], v[144:145], v[148:149]
	v_lshl_add_u32 v148, v207, 4, v201
	v_add_f64 v[146:147], v[146:147], v[154:155]
	v_add_f64 v[144:145], v[144:145], v[152:153]
	ds_write_b128 v148, v[156:159] offset:16
	ds_write_b128 v148, v[144:147]
	ds_write_b128 v148, v[160:163] offset:32
.LBB0_21:
	s_or_b32 exec_lo, exec_lo, s1
	s_waitcnt lgkmcnt(0)
	s_barrier
	buffer_gl0_inv
	ds_read_b128 v[144:147], v200 offset:2592
	ds_read_b128 v[148:151], v200 offset:4320
	;; [unrolled: 1-line block ×9, first 2 shown]
	ds_read_b128 v[188:191], v200
	s_mov_b32 s12, 0x134454ff
	s_mov_b32 s13, 0xbfee6f0e
	;; [unrolled: 1-line block ×10, first 2 shown]
	s_waitcnt lgkmcnt(9)
	v_mul_f64 v[204:205], v[42:43], v[144:145]
	s_waitcnt lgkmcnt(8)
	v_mul_f64 v[206:207], v[50:51], v[148:149]
	;; [unrolled: 2-line block ×5, first 2 shown]
	v_mul_f64 v[42:43], v[42:43], v[146:147]
	v_mul_f64 v[50:51], v[50:51], v[150:151]
	;; [unrolled: 1-line block ×4, first 2 shown]
	s_waitcnt lgkmcnt(4)
	v_mul_f64 v[217:218], v[70:71], v[174:175]
	v_mul_f64 v[70:71], v[70:71], v[172:173]
	s_waitcnt lgkmcnt(1)
	v_mul_f64 v[223:224], v[58:59], v[184:185]
	v_mul_f64 v[58:59], v[58:59], v[186:187]
	;; [unrolled: 1-line block ×7, first 2 shown]
	s_mov_b32 s21, 0xbfd3c6ef
	s_mov_b32 s20, s2
	;; [unrolled: 1-line block ×4, first 2 shown]
	v_fma_f64 v[146:147], v[40:41], v[146:147], -v[204:205]
	v_fma_f64 v[150:151], v[48:49], v[150:151], -v[206:207]
	;; [unrolled: 1-line block ×4, first 2 shown]
	s_waitcnt lgkmcnt(0)
	v_fma_f64 v[40:41], v[40:41], v[144:145], v[42:43]
	v_fma_f64 v[48:49], v[48:49], v[148:149], v[50:51]
	;; [unrolled: 1-line block ×4, first 2 shown]
	v_fma_f64 v[52:53], v[36:37], v[170:171], -v[215:216]
	v_fma_f64 v[172:173], v[68:69], v[172:173], v[217:218]
	v_fma_f64 v[68:69], v[68:69], v[174:175], -v[70:71]
	v_fma_f64 v[70:71], v[56:57], v[186:187], -v[223:224]
	v_fma_f64 v[50:51], v[56:57], v[184:185], v[58:59]
	v_fma_f64 v[42:43], v[64:65], v[176:177], v[219:220]
	v_fma_f64 v[64:65], v[64:65], v[178:179], -v[66:67]
	v_fma_f64 v[66:67], v[60:61], v[180:181], v[221:222]
	v_fma_f64 v[60:61], v[60:61], v[182:183], -v[62:63]
	v_fma_f64 v[36:37], v[36:37], v[168:169], v[38:39]
	s_barrier
	buffer_gl0_inv
	v_add_f64 v[215:216], v[146:147], -v[150:151]
	v_add_f64 v[54:55], v[150:151], v[154:155]
	v_add_f64 v[56:57], v[146:147], v[166:167]
	v_add_f64 v[213:214], v[146:147], -v[166:167]
	v_add_f64 v[217:218], v[166:167], -v[154:155]
	;; [unrolled: 1-line block ×3, first 2 shown]
	v_add_f64 v[164:165], v[48:49], v[44:45]
	v_add_f64 v[168:169], v[40:41], v[46:47]
	v_add_f64 v[170:171], v[40:41], -v[46:47]
	v_add_f64 v[174:175], v[48:49], -v[44:45]
	v_add_f64 v[38:39], v[188:189], v[172:173]
	v_add_f64 v[208:209], v[68:69], v[70:71]
	;; [unrolled: 1-line block ×3, first 2 shown]
	v_add_f64 v[148:149], v[172:173], -v[42:43]
	v_add_f64 v[219:220], v[150:151], -v[146:147]
	v_add_f64 v[58:59], v[42:43], v[66:67]
	v_add_f64 v[152:153], v[50:51], -v[66:67]
	v_add_f64 v[184:185], v[64:65], v[60:61]
	;; [unrolled: 2-line block ×3, first 2 shown]
	v_add_f64 v[62:63], v[68:69], -v[70:71]
	v_add_f64 v[144:145], v[64:65], -v[60:61]
	;; [unrolled: 1-line block ×3, first 2 shown]
	v_fma_f64 v[54:55], v[54:55], -0.5, v[52:53]
	v_fma_f64 v[56:57], v[56:57], -0.5, v[52:53]
	v_add_f64 v[52:53], v[52:53], v[146:147]
	v_add_f64 v[180:181], v[66:67], -v[50:51]
	v_add_f64 v[172:173], v[172:173], -v[50:51]
	v_fma_f64 v[164:165], v[164:165], -0.5, v[36:37]
	v_fma_f64 v[168:169], v[168:169], -0.5, v[36:37]
	v_add_f64 v[36:37], v[36:37], v[40:41]
	v_add_f64 v[186:187], v[42:43], -v[66:67]
	v_add_f64 v[231:232], v[40:41], -v[48:49]
	;; [unrolled: 1-line block ×3, first 2 shown]
	v_add_f64 v[38:39], v[38:39], v[42:43]
	v_fma_f64 v[42:43], v[176:177], -0.5, v[188:189]
	v_add_f64 v[176:177], v[215:216], v[217:218]
	v_fma_f64 v[58:59], v[58:59], -0.5, v[188:189]
	;; [unrolled: 2-line block ×3, first 2 shown]
	v_fma_f64 v[152:153], v[208:209], -0.5, v[190:191]
	v_add_f64 v[40:41], v[48:49], -v[40:41]
	v_add_f64 v[235:236], v[44:45], -v[46:47]
	v_add_f64 v[184:185], v[219:220], v[221:222]
	v_add_f64 v[204:205], v[68:69], -v[64:65]
	v_fma_f64 v[227:228], v[170:171], s[4:5], v[54:55]
	v_fma_f64 v[229:230], v[174:175], s[12:13], v[56:57]
	;; [unrolled: 1-line block ×4, first 2 shown]
	v_add_f64 v[68:69], v[64:65], -v[68:69]
	v_fma_f64 v[188:189], v[213:214], s[12:13], v[164:165]
	v_fma_f64 v[190:191], v[223:224], s[4:5], v[168:169]
	;; [unrolled: 1-line block ×4, first 2 shown]
	v_add_f64 v[64:65], v[182:183], v[64:65]
	v_add_f64 v[36:37], v[36:37], v[48:49]
	;; [unrolled: 1-line block ×3, first 2 shown]
	v_add_f64 v[206:207], v[70:71], -v[60:61]
	v_add_f64 v[48:49], v[231:232], v[233:234]
	v_fma_f64 v[150:151], v[62:63], s[12:13], v[58:59]
	v_add_f64 v[225:226], v[60:61], -v[70:71]
	v_fma_f64 v[58:59], v[62:63], s[4:5], v[58:59]
	v_add_f64 v[38:39], v[38:39], v[66:67]
	v_add_f64 v[40:41], v[40:41], v[235:236]
	v_fma_f64 v[208:209], v[174:175], s[16:17], v[227:228]
	v_fma_f64 v[215:216], v[170:171], s[16:17], v[229:230]
	;; [unrolled: 1-line block ×4, first 2 shown]
	v_add_f64 v[170:171], v[178:179], v[180:181]
	v_fma_f64 v[174:175], v[144:145], s[4:5], v[42:43]
	v_fma_f64 v[42:43], v[144:145], s[12:13], v[42:43]
	;; [unrolled: 1-line block ×10, first 2 shown]
	v_add_f64 v[60:61], v[64:65], v[60:61]
	v_add_f64 v[36:37], v[36:37], v[44:45]
	;; [unrolled: 1-line block ×3, first 2 shown]
	v_fma_f64 v[52:53], v[144:145], s[14:15], v[150:151]
	v_add_f64 v[68:69], v[68:69], v[225:226]
	v_fma_f64 v[58:59], v[144:145], s[16:17], v[58:59]
	v_add_f64 v[38:39], v[38:39], v[50:51]
	v_fma_f64 v[190:191], v[176:177], s[2:3], v[208:209]
	v_fma_f64 v[208:209], v[184:185], s[2:3], v[215:216]
	;; [unrolled: 1-line block ×4, first 2 shown]
	v_add_f64 v[176:177], v[204:205], v[206:207]
	v_fma_f64 v[64:65], v[62:63], s[14:15], v[174:175]
	v_fma_f64 v[42:43], v[62:63], s[16:17], v[42:43]
	;; [unrolled: 1-line block ×10, first 2 shown]
	v_add_f64 v[60:61], v[60:61], v[70:71]
	v_add_f64 v[36:37], v[36:37], v[46:47]
	v_add_f64 v[44:45], v[44:45], v[166:167]
	v_fma_f64 v[46:47], v[146:147], s[2:3], v[52:53]
	v_fma_f64 v[166:167], v[146:147], s[2:3], v[58:59]
	v_mul_f64 v[154:155], v[190:191], s[14:15]
	v_mul_f64 v[174:175], v[190:191], s[18:19]
	;; [unrolled: 1-line block ×8, first 2 shown]
	v_fma_f64 v[64:65], v[170:171], s[2:3], v[64:65]
	v_fma_f64 v[42:43], v[170:171], s[2:3], v[42:43]
	;; [unrolled: 1-line block ×6, first 2 shown]
	v_add_f64 v[52:53], v[38:39], -v[36:37]
	v_add_f64 v[50:51], v[60:61], v[44:45]
	v_fma_f64 v[154:155], v[150:151], s[18:19], v[154:155]
	v_fma_f64 v[150:151], v[150:151], s[16:17], v[174:175]
	;; [unrolled: 1-line block ×8, first 2 shown]
	v_add_f64 v[48:49], v[38:39], v[36:37]
	v_add_f64 v[54:55], v[60:61], -v[44:45]
	v_add_f64 v[56:57], v[46:47], v[154:155]
	v_add_f64 v[58:59], v[170:171], v[150:151]
	;; [unrolled: 1-line block ×8, first 2 shown]
	v_add_f64 v[36:37], v[46:47], -v[154:155]
	v_add_f64 v[38:39], v[170:171], -v[150:151]
	;; [unrolled: 1-line block ×8, first 2 shown]
	ds_write_b128 v210, v[48:51]
	ds_write_b128 v210, v[52:55] offset:240
	ds_write_b128 v210, v[56:59] offset:48
	;; [unrolled: 1-line block ×9, first 2 shown]
	s_waitcnt lgkmcnt(0)
	s_barrier
	buffer_gl0_inv
	ds_read_b128 v[48:51], v200
	ds_read_b128 v[52:55], v200 offset:1440
	ds_read_b128 v[56:59], v200 offset:2880
	;; [unrolled: 1-line block ×5, first 2 shown]
	s_and_saveexec_b32 s1, s0
	s_cbranch_execz .LBB0_23
; %bb.22:
	ds_read_b128 v[36:39], v200 offset:864
	ds_read_b128 v[40:43], v200 offset:2304
	;; [unrolled: 1-line block ×6, first 2 shown]
.LBB0_23:
	s_or_b32 exec_lo, exec_lo, s1
	s_waitcnt lgkmcnt(2)
	v_mul_f64 v[148:149], v[102:103], v[68:69]
	s_waitcnt lgkmcnt(0)
	v_mul_f64 v[150:151], v[106:107], v[144:145]
	v_mul_f64 v[152:153], v[98:99], v[64:65]
	;; [unrolled: 1-line block ×9, first 2 shown]
	s_mov_b32 s2, 0xe8584caa
	s_mov_b32 s3, 0xbfebb67a
	;; [unrolled: 1-line block ×4, first 2 shown]
	s_barrier
	buffer_gl0_inv
	v_fma_f64 v[70:71], v[100:101], v[70:71], -v[148:149]
	v_fma_f64 v[146:147], v[104:105], v[146:147], -v[150:151]
	v_mul_f64 v[148:149], v[74:75], v[40:41]
	v_fma_f64 v[66:67], v[96:97], v[66:67], -v[152:153]
	v_fma_f64 v[150:151], v[108:109], v[162:163], -v[154:155]
	v_mul_f64 v[152:153], v[94:95], v[58:59]
	v_mul_f64 v[94:95], v[94:95], v[56:57]
	;; [unrolled: 1-line block ×5, first 2 shown]
	v_fma_f64 v[68:69], v[100:101], v[68:69], v[102:103]
	v_fma_f64 v[100:101], v[104:105], v[144:145], v[106:107]
	v_fma_f64 v[54:55], v[84:85], v[54:55], -v[164:165]
	v_mul_f64 v[104:105], v[82:83], v[46:47]
	v_mul_f64 v[82:83], v[82:83], v[44:45]
	;; [unrolled: 1-line block ×4, first 2 shown]
	v_fma_f64 v[64:65], v[96:97], v[64:65], v[98:99]
	v_fma_f64 v[96:97], v[108:109], v[160:161], v[110:111]
	;; [unrolled: 1-line block ×3, first 2 shown]
	v_add_f64 v[102:103], v[70:71], v[146:147]
	v_fma_f64 v[42:43], v[72:73], v[42:43], -v[148:149]
	v_add_f64 v[98:99], v[66:67], v[150:151]
	v_fma_f64 v[56:57], v[92:93], v[56:57], v[152:153]
	v_fma_f64 v[58:59], v[92:93], v[58:59], -v[94:95]
	v_fma_f64 v[60:61], v[88:89], v[60:61], v[154:155]
	v_fma_f64 v[62:63], v[88:89], v[62:63], -v[90:91]
	v_fma_f64 v[40:41], v[72:73], v[40:41], v[74:75]
	v_add_f64 v[84:85], v[68:69], v[100:101]
	v_add_f64 v[86:87], v[68:69], -v[100:101]
	v_fma_f64 v[44:45], v[80:81], v[44:45], v[104:105]
	v_fma_f64 v[46:47], v[80:81], v[46:47], -v[82:83]
	v_fma_f64 v[80:81], v[76:77], v[156:157], v[106:107]
	v_fma_f64 v[76:77], v[76:77], v[158:159], -v[78:79]
	v_add_f64 v[104:105], v[66:67], -v[150:151]
	v_add_f64 v[72:73], v[64:65], v[96:97]
	v_add_f64 v[74:75], v[64:65], -v[96:97]
	v_fma_f64 v[88:89], v[102:103], -0.5, v[54:55]
	v_add_f64 v[54:55], v[54:55], v[70:71]
	v_fma_f64 v[78:79], v[98:99], -0.5, v[42:43]
	v_add_f64 v[82:83], v[48:49], v[56:57]
	v_add_f64 v[94:95], v[50:51], v[58:59]
	;; [unrolled: 1-line block ×3, first 2 shown]
	v_add_f64 v[92:93], v[58:59], -v[62:63]
	v_add_f64 v[58:59], v[58:59], v[62:63]
	v_add_f64 v[98:99], v[70:71], -v[146:147]
	v_fma_f64 v[84:85], v[84:85], -0.5, v[52:53]
	v_add_f64 v[102:103], v[56:57], -v[60:61]
	v_add_f64 v[52:53], v[52:53], v[68:69]
	v_add_f64 v[42:43], v[42:43], v[66:67]
	;; [unrolled: 1-line block ×3, first 2 shown]
	v_add_f64 v[106:107], v[46:47], -v[76:77]
	v_fma_f64 v[72:73], v[72:73], -0.5, v[40:41]
	v_add_f64 v[40:41], v[40:41], v[64:65]
	v_fma_f64 v[56:57], v[86:87], s[4:5], v[88:89]
	v_fma_f64 v[86:87], v[86:87], s[2:3], v[88:89]
	v_add_f64 v[88:89], v[46:47], v[76:77]
	v_fma_f64 v[70:71], v[74:75], s[4:5], v[78:79]
	v_fma_f64 v[74:75], v[74:75], s[2:3], v[78:79]
	v_add_f64 v[78:79], v[36:37], v[44:45]
	v_add_f64 v[46:47], v[38:39], v[46:47]
	v_add_f64 v[44:45], v[44:45], -v[80:81]
	v_add_f64 v[82:83], v[82:83], v[60:61]
	v_fma_f64 v[60:61], v[90:91], -0.5, v[48:49]
	v_add_f64 v[90:91], v[94:95], v[62:63]
	v_fma_f64 v[62:63], v[58:59], -0.5, v[50:51]
	v_fma_f64 v[64:65], v[98:99], s[2:3], v[84:85]
	v_fma_f64 v[66:67], v[98:99], s[4:5], v[84:85]
	v_fma_f64 v[36:37], v[68:69], -0.5, v[36:37]
	v_add_f64 v[100:101], v[52:53], v[100:101]
	v_add_f64 v[108:109], v[54:55], v[146:147]
	v_fma_f64 v[68:69], v[104:105], s[2:3], v[72:73]
	v_fma_f64 v[72:73], v[104:105], s[4:5], v[72:73]
	v_add_f64 v[50:51], v[40:41], v[96:97]
	v_add_f64 v[58:59], v[42:43], v[150:151]
	v_mul_f64 v[84:85], v[56:57], s[2:3]
	v_mul_f64 v[94:95], v[86:87], s[2:3]
	v_mul_f64 v[98:99], v[56:57], 0.5
	v_mul_f64 v[86:87], v[86:87], -0.5
	v_fma_f64 v[38:39], v[88:89], -0.5, v[38:39]
	v_mul_f64 v[88:89], v[70:71], s[2:3]
	v_mul_f64 v[104:105], v[74:75], s[2:3]
	v_mul_f64 v[70:71], v[70:71], 0.5
	v_mul_f64 v[74:75], v[74:75], -0.5
	v_add_f64 v[48:49], v[78:79], v[80:81]
	v_add_f64 v[56:57], v[46:47], v[76:77]
	v_fma_f64 v[40:41], v[92:93], s[2:3], v[60:61]
	v_fma_f64 v[42:43], v[92:93], s[4:5], v[60:61]
	;; [unrolled: 1-line block ×6, first 2 shown]
	v_add_f64 v[76:77], v[82:83], -v[100:101]
	v_add_f64 v[78:79], v[90:91], -v[108:109]
	v_fma_f64 v[92:93], v[64:65], 0.5, v[84:85]
	v_fma_f64 v[94:95], v[66:67], -0.5, v[94:95]
	v_fma_f64 v[98:99], v[64:65], s[4:5], v[98:99]
	v_fma_f64 v[102:103], v[66:67], s[4:5], v[86:87]
	;; [unrolled: 1-line block ×4, first 2 shown]
	v_fma_f64 v[60:61], v[68:69], 0.5, v[88:89]
	v_fma_f64 v[62:63], v[72:73], -0.5, v[104:105]
	v_fma_f64 v[68:69], v[68:69], s[4:5], v[70:71]
	v_fma_f64 v[70:71], v[72:73], s[4:5], v[74:75]
	v_add_f64 v[72:73], v[82:83], v[100:101]
	v_add_f64 v[74:75], v[90:91], v[108:109]
	v_add_f64 v[36:37], v[48:49], -v[50:51]
	v_add_f64 v[38:39], v[56:57], -v[58:59]
	v_add_f64 v[80:81], v[40:41], v[92:93]
	v_add_f64 v[84:85], v[42:43], v[94:95]
	;; [unrolled: 1-line block ×3, first 2 shown]
	v_add_f64 v[88:89], v[40:41], -v[92:93]
	v_add_f64 v[92:93], v[42:43], -v[94:95]
	;; [unrolled: 1-line block ×7, first 2 shown]
	v_add_f64 v[86:87], v[96:97], v[102:103]
	v_add_f64 v[94:95], v[96:97], -v[102:103]
	ds_write_b128 v211, v[72:75]
	ds_write_b128 v211, v[76:79] offset:1440
	ds_write_b128 v211, v[80:83] offset:480
	;; [unrolled: 1-line block ×5, first 2 shown]
	s_and_saveexec_b32 s1, s0
	s_cbranch_execz .LBB0_25
; %bb.24:
	v_add_f64 v[58:59], v[56:57], v[58:59]
	v_add_f64 v[56:57], v[48:49], v[50:51]
	v_mov_b32_e32 v48, 0xb4
	v_add_f64 v[66:67], v[66:67], v[70:71]
	v_add_f64 v[70:71], v[64:65], v[68:69]
	;; [unrolled: 1-line block ×4, first 2 shown]
	v_mul_u32_u24_sdwa v48, v202, v48 dst_sel:DWORD dst_unused:UNUSED_PAD src0_sel:WORD_0 src1_sel:DWORD
	v_add_nc_u32_e32 v48, v48, v203
	v_lshl_add_u32 v48, v48, 4, v201
	ds_write_b128 v48, v[36:39] offset:1440
	ds_write_b128 v48, v[40:43] offset:1920
	ds_write_b128 v48, v[56:59]
	ds_write_b128 v48, v[68:71] offset:480
	ds_write_b128 v48, v[64:67] offset:960
	;; [unrolled: 1-line block ×3, first 2 shown]
.LBB0_25:
	s_or_b32 exec_lo, exec_lo, s1
	s_waitcnt lgkmcnt(0)
	s_barrier
	buffer_gl0_inv
	ds_read_b128 v[56:59], v200
	ds_read_b128 v[48:51], v200 offset:864
	ds_read_b128 v[72:75], v200 offset:5760
	;; [unrolled: 1-line block ×8, first 2 shown]
	v_add_nc_u32_e32 v84, 0x6c0, v212
	s_and_saveexec_b32 s0, vcc_lo
	s_cbranch_execz .LBB0_27
; %bb.26:
	ds_read_b128 v[36:39], v200 offset:2592
	ds_read_b128 v[40:43], v200 offset:5472
	;; [unrolled: 1-line block ×3, first 2 shown]
.LBB0_27:
	s_or_b32 exec_lo, exec_lo, s0
	s_waitcnt lgkmcnt(4)
	v_mul_f64 v[85:86], v[130:131], v[82:83]
	v_mul_f64 v[87:88], v[134:135], v[74:75]
	;; [unrolled: 1-line block ×4, first 2 shown]
	s_waitcnt lgkmcnt(2)
	v_mul_f64 v[93:94], v[122:123], v[78:79]
	v_mul_f64 v[95:96], v[126:127], v[62:63]
	v_mul_f64 v[97:98], v[122:123], v[76:77]
	v_mul_f64 v[99:100], v[126:127], v[60:61]
	s_waitcnt lgkmcnt(1)
	v_mul_f64 v[101:102], v[138:139], v[66:67]
	s_waitcnt lgkmcnt(0)
	v_mul_f64 v[103:104], v[142:143], v[70:71]
	v_mul_f64 v[105:106], v[138:139], v[64:65]
	;; [unrolled: 1-line block ×3, first 2 shown]
	s_mov_b32 s0, 0xe8584caa
	s_mov_b32 s1, 0xbfebb67a
	;; [unrolled: 1-line block ×4, first 2 shown]
	v_fma_f64 v[80:81], v[128:129], v[80:81], v[85:86]
	v_fma_f64 v[72:73], v[132:133], v[72:73], v[87:88]
	v_fma_f64 v[82:83], v[128:129], v[82:83], -v[89:90]
	v_fma_f64 v[74:75], v[132:133], v[74:75], -v[91:92]
	v_fma_f64 v[76:77], v[120:121], v[76:77], v[93:94]
	v_fma_f64 v[60:61], v[124:125], v[60:61], v[95:96]
	v_fma_f64 v[78:79], v[120:121], v[78:79], -v[97:98]
	v_fma_f64 v[62:63], v[124:125], v[62:63], -v[99:100]
	;; [unrolled: 4-line block ×3, first 2 shown]
	v_add_f64 v[97:98], v[56:57], v[80:81]
	v_add_f64 v[85:86], v[80:81], v[72:73]
	v_add_f64 v[80:81], v[80:81], -v[72:73]
	v_add_f64 v[87:88], v[82:83], v[74:75]
	v_add_f64 v[99:100], v[82:83], -v[74:75]
	v_add_f64 v[89:90], v[76:77], v[60:61]
	v_add_f64 v[82:83], v[58:59], v[82:83]
	;; [unrolled: 1-line block ×9, first 2 shown]
	v_add_f64 v[78:79], v[78:79], -v[62:63]
	v_add_f64 v[76:77], v[76:77], -v[60:61]
	;; [unrolled: 1-line block ×4, first 2 shown]
	v_fma_f64 v[85:86], v[85:86], -0.5, v[56:57]
	v_fma_f64 v[87:88], v[87:88], -0.5, v[58:59]
	;; [unrolled: 1-line block ×3, first 2 shown]
	v_add_f64 v[48:49], v[97:98], v[72:73]
	v_fma_f64 v[91:92], v[91:92], -0.5, v[50:51]
	v_add_f64 v[50:51], v[82:83], v[74:75]
	v_fma_f64 v[93:94], v[93:94], -0.5, v[52:53]
	;; [unrolled: 2-line block ×3, first 2 shown]
	v_add_f64 v[54:55], v[103:104], v[62:63]
	v_add_f64 v[56:57], v[105:106], v[68:69]
	;; [unrolled: 1-line block ×3, first 2 shown]
	v_fma_f64 v[60:61], v[99:100], s[0:1], v[85:86]
	v_fma_f64 v[64:65], v[99:100], s[2:3], v[85:86]
	;; [unrolled: 1-line block ×12, first 2 shown]
	ds_write_b128 v200, v[48:51]
	ds_write_b128 v200, v[52:55] offset:864
	ds_write_b128 v200, v[56:59] offset:1728
	;; [unrolled: 1-line block ×8, first 2 shown]
	s_and_saveexec_b32 s4, vcc_lo
	s_cbranch_execz .LBB0_29
; %bb.28:
	v_mul_f64 v[48:49], v[114:115], v[40:41]
	v_mul_f64 v[50:51], v[118:119], v[44:45]
	;; [unrolled: 1-line block ×4, first 2 shown]
	v_fma_f64 v[42:43], v[112:113], v[42:43], -v[48:49]
	v_fma_f64 v[46:47], v[116:117], v[46:47], -v[50:51]
	v_fma_f64 v[40:41], v[112:113], v[40:41], v[52:53]
	v_fma_f64 v[44:45], v[116:117], v[44:45], v[54:55]
	v_add_f64 v[54:55], v[38:39], v[42:43]
	v_add_f64 v[48:49], v[42:43], v[46:47]
	v_add_f64 v[56:57], v[42:43], -v[46:47]
	v_add_f64 v[50:51], v[40:41], v[44:45]
	v_add_f64 v[52:53], v[40:41], -v[44:45]
	v_add_f64 v[40:41], v[36:37], v[40:41]
	v_fma_f64 v[48:49], v[48:49], -0.5, v[38:39]
	v_add_f64 v[38:39], v[54:55], v[46:47]
	v_fma_f64 v[50:51], v[50:51], -0.5, v[36:37]
	v_add_f64 v[36:37], v[40:41], v[44:45]
	v_fma_f64 v[46:47], v[52:53], s[2:3], v[48:49]
	v_fma_f64 v[42:43], v[52:53], s[0:1], v[48:49]
	;; [unrolled: 1-line block ×4, first 2 shown]
	ds_write_b128 v200, v[36:39] offset:2592
	ds_write_b128 v200, v[44:47] offset:5472
	;; [unrolled: 1-line block ×3, first 2 shown]
.LBB0_29:
	s_or_b32 exec_lo, exec_lo, s4
	s_waitcnt lgkmcnt(0)
	s_barrier
	buffer_gl0_inv
	ds_read_b128 v[36:39], v200
	ds_read_b128 v[40:43], v200 offset:2880
	ds_read_b128 v[44:47], v200 offset:864
	;; [unrolled: 1-line block ×3, first 2 shown]
	v_mad_u64_u32 v[72:73], null, s10, v192, 0
	v_mad_u64_u32 v[74:75], null, s8, v199, 0
	ds_read_b128 v[52:55], v200 offset:3744
	ds_read_b128 v[56:59], v200 offset:6624
	;; [unrolled: 1-line block ×5, first 2 shown]
	s_mul_i32 s1, s9, 0xb4
	s_mul_hi_u32 s4, s8, 0xb4
	s_mul_i32 s0, s8, 0xb4
	s_add_i32 s1, s4, s1
	v_mad_u64_u32 v[78:79], null, s11, v192, v[73:74]
	s_mov_b32 s2, 0xc901e574
	s_mov_b32 s3, 0x3f5e573a
	s_lshl_b64 s[4:5], s[0:1], 4
	s_mul_hi_u32 s12, s8, 0xfffffece
	s_mul_i32 s10, s9, 0xfffffece
	s_waitcnt lgkmcnt(8)
	v_mul_f64 v[76:77], v[2:3], v[38:39]
	v_mul_f64 v[2:3], v[2:3], v[36:37]
	v_mov_b32_e32 v73, v78
	s_waitcnt lgkmcnt(5)
	v_mul_f64 v[82:83], v[18:19], v[50:51]
	v_mul_f64 v[18:19], v[18:19], v[48:49]
	;; [unrolled: 1-line block ×4, first 2 shown]
	s_waitcnt lgkmcnt(4)
	v_mul_f64 v[86:87], v[14:15], v[54:55]
	s_waitcnt lgkmcnt(2)
	v_mul_f64 v[88:89], v[10:11], v[60:61]
	v_mul_f64 v[14:15], v[14:15], v[52:53]
	v_fma_f64 v[36:37], v[0:1], v[36:37], v[76:77]
	v_fma_f64 v[2:3], v[0:1], v[38:39], -v[2:3]
	v_mad_u64_u32 v[79:80], null, s9, v199, v[75:76]
	v_mul_f64 v[80:81], v[22:23], v[42:43]
	v_mul_f64 v[22:23], v[22:23], v[40:41]
	v_lshlrev_b64 v[0:1], 4, v[72:73]
	v_mul_f64 v[76:77], v[10:11], v[62:63]
	v_mul_f64 v[38:39], v[26:27], v[58:59]
	;; [unrolled: 1-line block ×3, first 2 shown]
	v_mov_b32_e32 v75, v79
	s_waitcnt lgkmcnt(1)
	v_mul_f64 v[72:73], v[30:31], v[66:67]
	v_mul_f64 v[30:31], v[30:31], v[64:65]
	s_waitcnt lgkmcnt(0)
	v_mul_f64 v[78:79], v[34:35], v[70:71]
	v_mul_f64 v[34:35], v[34:35], v[68:69]
	v_lshlrev_b64 v[10:11], 4, v[74:75]
	v_add_co_u32 v74, s0, s6, v0
	v_add_co_ci_u32_e64 v75, s0, s7, v1, s0
	v_mul_f64 v[0:1], v[36:37], s[2:3]
	v_mul_f64 v[2:3], v[2:3], s[2:3]
	v_add_co_u32 v36, s0, v74, v10
	v_fma_f64 v[40:41], v[20:21], v[40:41], v[80:81]
	v_fma_f64 v[20:21], v[20:21], v[42:43], -v[22:23]
	v_fma_f64 v[22:23], v[16:17], v[48:49], v[82:83]
	v_fma_f64 v[16:17], v[16:17], v[50:51], -v[18:19]
	;; [unrolled: 2-line block ×3, first 2 shown]
	v_add_co_ci_u32_e64 v37, s0, v75, v11, s0
	v_fma_f64 v[46:47], v[12:13], v[52:53], v[86:87]
	v_add_co_u32 v42, s0, v36, s4
	v_add_co_ci_u32_e64 v43, s0, s5, v37, s0
	v_fma_f64 v[48:49], v[12:13], v[54:55], -v[14:15]
	v_add_co_u32 v50, s0, v42, s4
	v_fma_f64 v[52:53], v[32:33], v[70:71], -v[34:35]
	v_add_co_ci_u32_e64 v51, s0, s5, v43, s0
	global_store_dwordx4 v[36:37], v[0:3], off
	v_fma_f64 v[2:3], v[24:25], v[58:59], -v[26:27]
	v_fma_f64 v[0:1], v[24:25], v[56:57], v[38:39]
	v_fma_f64 v[26:27], v[8:9], v[60:61], v[76:77]
	v_fma_f64 v[8:9], v[8:9], v[62:63], -v[88:89]
	v_fma_f64 v[36:37], v[28:29], v[64:65], v[72:73]
	v_fma_f64 v[38:39], v[28:29], v[66:67], -v[30:31]
	v_mul_f64 v[4:5], v[40:41], s[2:3]
	v_fma_f64 v[40:41], v[32:33], v[68:69], v[78:79]
	v_mul_f64 v[6:7], v[20:21], s[2:3]
	s_sub_i32 s0, s12, s8
	v_mul_f64 v[12:13], v[16:17], s[2:3]
	s_add_i32 s1, s0, s10
	s_mul_i32 s0, s8, 0xfffffece
	v_mul_f64 v[16:17], v[44:45], s[2:3]
	s_lshl_b64 s[6:7], s[0:1], 4
	v_mul_f64 v[14:15], v[18:19], s[2:3]
	v_add_co_u32 v44, s0, v50, s6
	v_add_co_ci_u32_e64 v45, s0, s7, v51, s0
	v_mul_f64 v[18:19], v[46:47], s[2:3]
	v_add_co_u32 v46, s0, v44, s4
	v_add_co_ci_u32_e64 v47, s0, s5, v45, s0
	v_mul_f64 v[10:11], v[22:23], s[2:3]
	v_mul_f64 v[20:21], v[48:49], s[2:3]
	;; [unrolled: 1-line block ×3, first 2 shown]
	v_add_co_u32 v2, s0, v46, s4
	v_mul_f64 v[22:23], v[0:1], s[2:3]
	v_mul_f64 v[26:27], v[26:27], s[2:3]
	;; [unrolled: 1-line block ×3, first 2 shown]
	v_add_co_ci_u32_e64 v3, s0, s5, v47, s0
	v_mul_f64 v[30:31], v[36:37], s[2:3]
	v_mul_f64 v[32:33], v[38:39], s[2:3]
	;; [unrolled: 1-line block ×4, first 2 shown]
	global_store_dwordx4 v[42:43], v[4:7], off
	v_add_co_u32 v4, s0, v2, s6
	v_add_co_ci_u32_e64 v5, s0, s7, v3, s0
	v_add_co_u32 v6, s0, v4, s4
	v_add_co_ci_u32_e64 v7, s0, s5, v5, s0
	global_store_dwordx4 v[50:51], v[10:13], off
	v_add_co_u32 v0, s0, v6, s4
	v_add_co_ci_u32_e64 v1, s0, s5, v7, s0
	global_store_dwordx4 v[44:45], v[14:17], off
	global_store_dwordx4 v[46:47], v[18:21], off
	;; [unrolled: 1-line block ×6, first 2 shown]
	s_and_b32 exec_lo, exec_lo, vcc_lo
	s_cbranch_execz .LBB0_31
; %bb.30:
	s_clause 0x2
	global_load_dwordx4 v[2:5], v[195:196], off offset:544
	global_load_dwordx4 v[6:9], v[193:194], off offset:1376
	;; [unrolled: 1-line block ×3, first 2 shown]
	ds_read_b128 v[14:17], v200 offset:2592
	ds_read_b128 v[18:21], v200 offset:5472
	;; [unrolled: 1-line block ×3, first 2 shown]
	v_add_co_u32 v0, vcc_lo, v0, s6
	v_add_co_ci_u32_e32 v1, vcc_lo, s7, v1, vcc_lo
	s_waitcnt vmcnt(2) lgkmcnt(2)
	v_mul_f64 v[26:27], v[16:17], v[4:5]
	v_mul_f64 v[4:5], v[14:15], v[4:5]
	s_waitcnt vmcnt(1) lgkmcnt(1)
	v_mul_f64 v[28:29], v[20:21], v[8:9]
	v_mul_f64 v[8:9], v[18:19], v[8:9]
	;; [unrolled: 3-line block ×3, first 2 shown]
	v_fma_f64 v[14:15], v[14:15], v[2:3], v[26:27]
	v_fma_f64 v[4:5], v[2:3], v[16:17], -v[4:5]
	v_fma_f64 v[16:17], v[18:19], v[6:7], v[28:29]
	v_fma_f64 v[8:9], v[6:7], v[20:21], -v[8:9]
	v_fma_f64 v[18:19], v[22:23], v[10:11], v[30:31]
	v_fma_f64 v[12:13], v[10:11], v[24:25], -v[12:13]
	v_mul_f64 v[2:3], v[14:15], s[2:3]
	v_mul_f64 v[4:5], v[4:5], s[2:3]
	;; [unrolled: 1-line block ×6, first 2 shown]
	v_add_co_u32 v14, vcc_lo, v0, s4
	v_add_co_ci_u32_e32 v15, vcc_lo, s5, v1, vcc_lo
	v_add_co_u32 v16, vcc_lo, v14, s4
	v_add_co_ci_u32_e32 v17, vcc_lo, s5, v15, vcc_lo
	global_store_dwordx4 v[0:1], v[2:5], off
	global_store_dwordx4 v[14:15], v[6:9], off
	;; [unrolled: 1-line block ×3, first 2 shown]
.LBB0_31:
	s_endpgm
	.section	.rodata,"a",@progbits
	.p2align	6, 0x0
	.amdhsa_kernel bluestein_single_fwd_len540_dim1_dp_op_CI_CI
		.amdhsa_group_segment_fixed_size 34560
		.amdhsa_private_segment_fixed_size 0
		.amdhsa_kernarg_size 104
		.amdhsa_user_sgpr_count 6
		.amdhsa_user_sgpr_private_segment_buffer 1
		.amdhsa_user_sgpr_dispatch_ptr 0
		.amdhsa_user_sgpr_queue_ptr 0
		.amdhsa_user_sgpr_kernarg_segment_ptr 1
		.amdhsa_user_sgpr_dispatch_id 0
		.amdhsa_user_sgpr_flat_scratch_init 0
		.amdhsa_user_sgpr_private_segment_size 0
		.amdhsa_wavefront_size32 1
		.amdhsa_uses_dynamic_stack 0
		.amdhsa_system_sgpr_private_segment_wavefront_offset 0
		.amdhsa_system_sgpr_workgroup_id_x 1
		.amdhsa_system_sgpr_workgroup_id_y 0
		.amdhsa_system_sgpr_workgroup_id_z 0
		.amdhsa_system_sgpr_workgroup_info 0
		.amdhsa_system_vgpr_workitem_id 0
		.amdhsa_next_free_vgpr 248
		.amdhsa_next_free_sgpr 24
		.amdhsa_reserve_vcc 1
		.amdhsa_reserve_flat_scratch 0
		.amdhsa_float_round_mode_32 0
		.amdhsa_float_round_mode_16_64 0
		.amdhsa_float_denorm_mode_32 3
		.amdhsa_float_denorm_mode_16_64 3
		.amdhsa_dx10_clamp 1
		.amdhsa_ieee_mode 1
		.amdhsa_fp16_overflow 0
		.amdhsa_workgroup_processor_mode 1
		.amdhsa_memory_ordered 1
		.amdhsa_forward_progress 0
		.amdhsa_shared_vgpr_count 0
		.amdhsa_exception_fp_ieee_invalid_op 0
		.amdhsa_exception_fp_denorm_src 0
		.amdhsa_exception_fp_ieee_div_zero 0
		.amdhsa_exception_fp_ieee_overflow 0
		.amdhsa_exception_fp_ieee_underflow 0
		.amdhsa_exception_fp_ieee_inexact 0
		.amdhsa_exception_int_div_zero 0
	.end_amdhsa_kernel
	.text
.Lfunc_end0:
	.size	bluestein_single_fwd_len540_dim1_dp_op_CI_CI, .Lfunc_end0-bluestein_single_fwd_len540_dim1_dp_op_CI_CI
                                        ; -- End function
	.section	.AMDGPU.csdata,"",@progbits
; Kernel info:
; codeLenInByte = 14096
; NumSgprs: 26
; NumVgprs: 248
; ScratchSize: 0
; MemoryBound: 0
; FloatMode: 240
; IeeeMode: 1
; LDSByteSize: 34560 bytes/workgroup (compile time only)
; SGPRBlocks: 3
; VGPRBlocks: 30
; NumSGPRsForWavesPerEU: 26
; NumVGPRsForWavesPerEU: 248
; Occupancy: 4
; WaveLimiterHint : 1
; COMPUTE_PGM_RSRC2:SCRATCH_EN: 0
; COMPUTE_PGM_RSRC2:USER_SGPR: 6
; COMPUTE_PGM_RSRC2:TRAP_HANDLER: 0
; COMPUTE_PGM_RSRC2:TGID_X_EN: 1
; COMPUTE_PGM_RSRC2:TGID_Y_EN: 0
; COMPUTE_PGM_RSRC2:TGID_Z_EN: 0
; COMPUTE_PGM_RSRC2:TIDIG_COMP_CNT: 0
	.text
	.p2alignl 6, 3214868480
	.fill 48, 4, 3214868480
	.type	__hip_cuid_f7e0e95ab2acf9ae,@object ; @__hip_cuid_f7e0e95ab2acf9ae
	.section	.bss,"aw",@nobits
	.globl	__hip_cuid_f7e0e95ab2acf9ae
__hip_cuid_f7e0e95ab2acf9ae:
	.byte	0                               ; 0x0
	.size	__hip_cuid_f7e0e95ab2acf9ae, 1

	.ident	"AMD clang version 19.0.0git (https://github.com/RadeonOpenCompute/llvm-project roc-6.4.0 25133 c7fe45cf4b819c5991fe208aaa96edf142730f1d)"
	.section	".note.GNU-stack","",@progbits
	.addrsig
	.addrsig_sym __hip_cuid_f7e0e95ab2acf9ae
	.amdgpu_metadata
---
amdhsa.kernels:
  - .args:
      - .actual_access:  read_only
        .address_space:  global
        .offset:         0
        .size:           8
        .value_kind:     global_buffer
      - .actual_access:  read_only
        .address_space:  global
        .offset:         8
        .size:           8
        .value_kind:     global_buffer
      - .actual_access:  read_only
        .address_space:  global
        .offset:         16
        .size:           8
        .value_kind:     global_buffer
      - .actual_access:  read_only
        .address_space:  global
        .offset:         24
        .size:           8
        .value_kind:     global_buffer
      - .actual_access:  read_only
        .address_space:  global
        .offset:         32
        .size:           8
        .value_kind:     global_buffer
      - .offset:         40
        .size:           8
        .value_kind:     by_value
      - .address_space:  global
        .offset:         48
        .size:           8
        .value_kind:     global_buffer
      - .address_space:  global
        .offset:         56
        .size:           8
        .value_kind:     global_buffer
      - .address_space:  global
        .offset:         64
        .size:           8
        .value_kind:     global_buffer
      - .address_space:  global
        .offset:         72
        .size:           8
        .value_kind:     global_buffer
      - .offset:         80
        .size:           4
        .value_kind:     by_value
      - .address_space:  global
        .offset:         88
        .size:           8
        .value_kind:     global_buffer
      - .address_space:  global
        .offset:         96
        .size:           8
        .value_kind:     global_buffer
    .group_segment_fixed_size: 34560
    .kernarg_segment_align: 8
    .kernarg_segment_size: 104
    .language:       OpenCL C
    .language_version:
      - 2
      - 0
    .max_flat_workgroup_size: 216
    .name:           bluestein_single_fwd_len540_dim1_dp_op_CI_CI
    .private_segment_fixed_size: 0
    .sgpr_count:     26
    .sgpr_spill_count: 0
    .symbol:         bluestein_single_fwd_len540_dim1_dp_op_CI_CI.kd
    .uniform_work_group_size: 1
    .uses_dynamic_stack: false
    .vgpr_count:     248
    .vgpr_spill_count: 0
    .wavefront_size: 32
    .workgroup_processor_mode: 1
amdhsa.target:   amdgcn-amd-amdhsa--gfx1030
amdhsa.version:
  - 1
  - 2
...

	.end_amdgpu_metadata
